;; amdgpu-corpus repo=ROCm/rocFFT kind=compiled arch=gfx1201 opt=O3
	.text
	.amdgcn_target "amdgcn-amd-amdhsa--gfx1201"
	.amdhsa_code_object_version 6
	.protected	bluestein_single_fwd_len2560_dim1_sp_op_CI_CI ; -- Begin function bluestein_single_fwd_len2560_dim1_sp_op_CI_CI
	.globl	bluestein_single_fwd_len2560_dim1_sp_op_CI_CI
	.p2align	8
	.type	bluestein_single_fwd_len2560_dim1_sp_op_CI_CI,@function
bluestein_single_fwd_len2560_dim1_sp_op_CI_CI: ; @bluestein_single_fwd_len2560_dim1_sp_op_CI_CI
; %bb.0:
	s_load_b128 s[16:19], s[0:1], 0x28
	s_mov_b32 s2, ttmp9
	s_mov_b32 s3, 0
	s_mov_b32 s5, exec_lo
	s_wait_kmcnt 0x0
	v_cmpx_lt_u64_e64 s[2:3], s[16:17]
	s_cbranch_execz .LBB0_2
; %bb.1:
	s_clause 0x1
	s_load_b128 s[4:7], s[0:1], 0x18
	s_load_b128 s[8:11], s[0:1], 0x0
	v_dual_mov_b32 v118, s3 :: v_dual_mov_b32 v117, s2
	v_lshlrev_b32_e32 v134, 3, v0
	s_movk_i32 s2, 0xc800
	s_mov_b32 s3, -1
	v_or_b32_e32 v25, 0x80, v0
	s_load_b64 s[0:1], s[0:1], 0x38
	v_lshlrev_b32_e32 v135, 5, v0
	s_wait_kmcnt 0x0
	s_load_b128 s[12:15], s[4:5], 0x0
	s_clause 0x11
	global_load_b64 v[77:78], v134, s[8:9] offset:15360
	global_load_b64 v[79:80], v134, s[8:9] offset:11264
	;; [unrolled: 1-line block ×4, first 2 shown]
	global_load_b64 v[89:90], v134, s[8:9]
	global_load_b64 v[87:88], v134, s[8:9] offset:1024
	global_load_b64 v[85:86], v134, s[8:9] offset:2048
	;; [unrolled: 1-line block ×13, first 2 shown]
	s_wait_kmcnt 0x0
	v_mad_co_u64_u32 v[1:2], null, s14, v117, 0
	v_mad_co_u64_u32 v[3:4], null, s12, v0, 0
	s_mul_u64 s[4:5], s[12:13], 0x1400
	s_delay_alu instid0(VALU_DEP_1) | instskip(NEXT) | instid1(VALU_DEP_1)
	v_mad_co_u64_u32 v[5:6], null, s15, v117, v[2:3]
	v_mad_co_u64_u32 v[6:7], null, s13, v0, v[4:5]
	v_mov_b32_e32 v2, v5
	s_mul_u64 s[12:13], s[12:13], s[2:3]
	s_delay_alu instid0(VALU_DEP_1) | instskip(NEXT) | instid1(VALU_DEP_3)
	v_lshlrev_b64_e32 v[1:2], 3, v[1:2]
	v_mov_b32_e32 v4, v6
	s_delay_alu instid0(VALU_DEP_2) | instskip(NEXT) | instid1(VALU_DEP_2)
	v_add_co_u32 v1, vcc_lo, s18, v1
	v_lshlrev_b64_e32 v[3:4], 3, v[3:4]
	s_delay_alu instid0(VALU_DEP_4) | instskip(NEXT) | instid1(VALU_DEP_2)
	v_add_co_ci_u32_e32 v2, vcc_lo, s19, v2, vcc_lo
	v_add_co_u32 v1, vcc_lo, v1, v3
	s_wait_alu 0xfffd
	s_delay_alu instid0(VALU_DEP_2) | instskip(NEXT) | instid1(VALU_DEP_2)
	v_add_co_ci_u32_e32 v2, vcc_lo, v2, v4, vcc_lo
	v_add_co_u32 v3, vcc_lo, v1, s4
	s_wait_alu 0xfffd
	s_delay_alu instid0(VALU_DEP_2)
	v_add_co_ci_u32_e32 v4, vcc_lo, s5, v2, vcc_lo
	global_load_b64 v[1:2], v[1:2], off
	v_add_co_u32 v5, vcc_lo, v3, s4
	s_wait_alu 0xfffd
	v_add_co_ci_u32_e32 v6, vcc_lo, s5, v4, vcc_lo
	v_lshlrev_b32_e32 v137, 5, v25
	s_delay_alu instid0(VALU_DEP_3) | instskip(SKIP_1) | instid1(VALU_DEP_3)
	v_add_co_u32 v7, vcc_lo, v5, s4
	s_wait_alu 0xfffd
	v_add_co_ci_u32_e32 v8, vcc_lo, s5, v6, vcc_lo
	s_wait_alu 0xfffe
	s_delay_alu instid0(VALU_DEP_2) | instskip(SKIP_1) | instid1(VALU_DEP_2)
	v_add_co_u32 v9, vcc_lo, v7, s12
	s_wait_alu 0xfffd
	v_add_co_ci_u32_e32 v10, vcc_lo, s13, v8, vcc_lo
	s_clause 0x3
	global_load_b64 v[3:4], v[3:4], off
	global_load_b64 v[5:6], v[5:6], off
	;; [unrolled: 1-line block ×4, first 2 shown]
	v_add_co_u32 v11, vcc_lo, v9, s4
	s_wait_alu 0xfffd
	v_add_co_ci_u32_e32 v12, vcc_lo, s5, v10, vcc_lo
	v_and_b32_e32 v52, 3, v0
	s_delay_alu instid0(VALU_DEP_3) | instskip(SKIP_1) | instid1(VALU_DEP_3)
	v_add_co_u32 v9, vcc_lo, v11, s4
	s_wait_alu 0xfffd
	v_add_co_ci_u32_e32 v10, vcc_lo, s5, v12, vcc_lo
	global_load_b64 v[11:12], v[11:12], off
	v_add_co_u32 v15, vcc_lo, v9, s4
	s_wait_alu 0xfffd
	v_add_co_ci_u32_e32 v16, vcc_lo, s5, v10, vcc_lo
	global_load_b64 v[17:18], v[9:10], off
	;; [unrolled: 4-line block ×13, first 2 shown]
	v_add_co_u32 v40, vcc_lo, v9, s4
	s_wait_alu 0xfffd
	v_add_co_ci_u32_e32 v41, vcc_lo, s5, v10, vcc_lo
	s_wait_loadcnt 0x11
	v_mul_f32_e32 v45, v1, v90
	global_load_b64 v[113:114], v134, s[8:9] offset:14336
	global_load_b64 v[42:43], v[9:10], off
	global_load_b64 v[115:116], v134, s[8:9] offset:19456
	global_load_b64 v[40:41], v[40:41], off
	v_dual_mul_f32 v44, v2, v90 :: v_dual_lshlrev_b32 v9, 2, v0
	s_load_b128 s[4:7], s[6:7], 0x0
	v_fma_f32 v45, v2, v89, -v45
	s_delay_alu instid0(VALU_DEP_2) | instskip(NEXT) | instid1(VALU_DEP_3)
	v_lshlrev_b32_e32 v136, 3, v9
	v_fmac_f32_e32 v44, v1, v89
	v_or_b32_e32 v10, 0x400, v9
	s_wait_loadcnt 0x14
	v_mul_f32_e32 v47, v3, v110
	s_wait_loadcnt 0x13
	v_dual_mul_f32 v1, v6, v112 :: v_dual_mul_f32 v46, v4, v110
	s_wait_loadcnt 0x11
	v_mul_f32_e32 v48, v13, v88
	v_mad_co_u64_u32 v[50:51], null, v52, 24, s[10:11]
	v_fma_f32 v47, v4, v109, -v47
	v_dual_fmac_f32 v1, v5, v111 :: v_dual_fmac_f32 v46, v3, v109
	v_dual_mul_f32 v3, v8, v78 :: v_dual_mul_f32 v2, v5, v112
	v_dual_mul_f32 v5, v14, v88 :: v_dual_mul_f32 v4, v7, v78
	s_wait_kmcnt 0x0
	s_mul_u64 s[2:3], s[4:5], s[2:3]
	s_delay_alu instid0(VALU_DEP_2)
	v_fmac_f32_e32 v3, v7, v77
	v_fma_f32 v2, v6, v111, -v2
	v_fmac_f32_e32 v5, v13, v87
	v_fma_f32 v4, v8, v77, -v4
	s_wait_loadcnt 0xf
	v_mul_f32_e32 v7, v18, v80
	v_dual_mul_f32 v8, v17, v80 :: v_dual_mul_f32 v13, v12, v82
	v_fma_f32 v6, v14, v87, -v48
	s_delay_alu instid0(VALU_DEP_3) | instskip(NEXT) | instid1(VALU_DEP_3)
	v_dual_mul_f32 v14, v11, v82 :: v_dual_fmac_f32 v7, v17, v79
	v_dual_fmac_f32 v13, v11, v81 :: v_dual_lshlrev_b32 v138, 3, v10
	ds_store_2addr_stride64_b64 v134, v[44:45], v[5:6] offset1:2
	s_wait_loadcnt 0xe
	v_mul_f32_e32 v5, v16, v106
	v_fma_f32 v8, v18, v79, -v8
	v_fma_f32 v14, v12, v81, -v14
	v_mul_f32_e32 v6, v15, v106
	s_delay_alu instid0(VALU_DEP_4)
	v_fmac_f32_e32 v5, v15, v105
	ds_store_2addr_stride64_b64 v134, v[1:2], v[7:8] offset0:20 offset1:22
	s_wait_loadcnt 0xc
	v_dual_mul_f32 v1, v22, v86 :: v_dual_mul_f32 v8, v19, v84
	v_mul_f32_e32 v7, v20, v84
	v_fma_f32 v6, v16, v105, -v6
	v_mul_f32_e32 v2, v21, v86
	s_delay_alu instid0(VALU_DEP_4)
	v_fmac_f32_e32 v1, v21, v85
	v_fma_f32 v8, v20, v83, -v8
	s_wait_loadcnt 0xb
	v_mul_f32_e32 v16, v26, v98
	v_mul_f32_e32 v15, v27, v98
	s_wait_loadcnt 0xa
	v_mul_f32_e32 v11, v24, v102
	v_mul_f32_e32 v12, v23, v102
	v_fmac_f32_e32 v7, v19, v83
	v_fma_f32 v2, v22, v85, -v2
	v_fma_f32 v16, v27, v97, -v16
	v_fmac_f32_e32 v11, v23, v101
	v_fma_f32 v12, v24, v101, -v12
	ds_store_2addr_stride64_b64 v134, v[5:6], v[11:12] offset0:32 offset1:34
	s_wait_loadcnt 0x8
	v_mul_f32_e32 v6, v28, v94
	ds_store_2addr_stride64_b64 v134, v[13:14], v[7:8] offset0:12 offset1:14
	v_mul_f32_e32 v7, v31, v92
	v_mul_f32_e32 v8, v30, v92
	s_wait_loadcnt 0x7
	v_mul_f32_e32 v11, v35, v96
	v_mul_f32_e32 v5, v29, v94
	v_fma_f32 v6, v29, v93, -v6
	v_fma_f32 v8, v31, v91, -v8
	s_delay_alu instid0(VALU_DEP_4) | instskip(NEXT) | instid1(VALU_DEP_4)
	v_fmac_f32_e32 v11, v34, v95
	v_fmac_f32_e32 v5, v28, v93
	s_wait_loadcnt 0x4
	v_mul_f32_e32 v13, v37, v108
	v_mul_f32_e32 v14, v36, v108
	s_delay_alu instid0(VALU_DEP_2) | instskip(NEXT) | instid1(VALU_DEP_2)
	v_fmac_f32_e32 v13, v36, v107
	v_fma_f32 v14, v37, v107, -v14
	s_wait_loadcnt 0x2
	v_mul_f32_e32 v18, v42, v114
	s_wait_loadcnt 0x0
	v_dual_fmac_f32 v7, v30, v91 :: v_dual_mul_f32 v20, v40, v116
	v_mul_f32_e32 v17, v43, v114
	v_mul_f32_e32 v19, v41, v116
	v_fma_f32 v18, v43, v113, -v18
	ds_store_2addr_stride64_b64 v134, v[1:2], v[7:8] offset0:4 offset1:6
	v_mul_f32_e32 v2, v34, v96
	v_mul_f32_e32 v7, v39, v104
	;; [unrolled: 1-line block ×4, first 2 shown]
	v_fmac_f32_e32 v17, v42, v113
	v_fma_f32 v12, v35, v95, -v2
	v_dual_mul_f32 v2, v32, v100 :: v_dual_fmac_f32 v15, v26, v97
	v_fmac_f32_e32 v7, v38, v103
	v_fma_f32 v8, v39, v103, -v8
	v_fmac_f32_e32 v1, v32, v99
	s_delay_alu instid0(VALU_DEP_4)
	v_fma_f32 v2, v33, v99, -v2
	v_fmac_f32_e32 v19, v40, v115
	v_fma_f32 v20, v41, v115, -v20
	ds_store_2addr_stride64_b64 v134, v[15:16], v[11:12] offset0:24 offset1:26
	ds_store_2addr_stride64_b64 v134, v[7:8], v[46:47] offset0:8 offset1:10
	;; [unrolled: 1-line block ×5, first 2 shown]
	global_wb scope:SCOPE_SE
	s_wait_dscnt 0x0
	s_barrier_signal -1
	s_barrier_wait -1
	global_inv scope:SCOPE_SE
	ds_load_2addr_stride64_b64 v[1:4], v134 offset1:2
	ds_load_2addr_stride64_b64 v[5:8], v134 offset0:20 offset1:22
	ds_load_2addr_stride64_b64 v[13:16], v134 offset0:8 offset1:10
	;; [unrolled: 1-line block ×9, first 2 shown]
	v_or_b32_e32 v11, 0x600, v9
	v_or_b32_e32 v12, 0x800, v9
	global_wb scope:SCOPE_SE
	s_wait_dscnt 0x0
	s_barrier_signal -1
	s_barrier_wait -1
	global_inv scope:SCOPE_SE
	v_lshlrev_b32_e32 v140, 3, v12
	v_sub_f32_e32 v46, v1, v5
	v_sub_f32_e32 v8, v4, v8
	v_dual_sub_f32 v5, v16, v20 :: v_dual_sub_f32 v20, v22, v27
	v_sub_f32_e32 v28, v23, v28
	s_delay_alu instid0(VALU_DEP_4) | instskip(NEXT) | instid1(VALU_DEP_4)
	v_fma_f32 v1, v1, 2.0, -v46
	v_fma_f32 v54, v4, 2.0, -v8
	s_delay_alu instid0(VALU_DEP_4)
	v_fma_f32 v22, v22, 2.0, -v20
	v_sub_f32_e32 v27, v31, v35
	v_sub_f32_e32 v35, v33, v37
	;; [unrolled: 1-line block ×4, first 2 shown]
	v_dual_sub_f32 v47, v2, v6 :: v_dual_sub_f32 v6, v15, v19
	s_delay_alu instid0(VALU_DEP_4) | instskip(NEXT) | instid1(VALU_DEP_4)
	v_fma_f32 v58, v33, 2.0, -v35
	v_fma_f32 v39, v39, 2.0, -v37
	v_sub_f32_e32 v29, v24, v29
	v_fma_f32 v60, v14, 2.0, -v43
	v_sub_f32_e32 v14, v54, v22
	;; [unrolled: 2-line block ×4, first 2 shown]
	v_sub_f32_e32 v26, v30, v34
	v_sub_f32_e32 v34, v32, v36
	;; [unrolled: 1-line block ×4, first 2 shown]
	v_dual_sub_f32 v18, v41, v45 :: v_dual_lshlrev_b32 v139, 3, v11
	v_sub_f32_e32 v17, v40, v44
	s_delay_alu instid0(VALU_DEP_4)
	v_add_f32_e32 v24, v35, v36
	v_fma_f32 v2, v2, 2.0, -v47
	v_sub_f32_e32 v7, v3, v7
	v_fma_f32 v44, v15, 2.0, -v6
	v_fma_f32 v55, v30, 2.0, -v26
	;; [unrolled: 1-line block ×4, first 2 shown]
	v_sub_f32_e32 v15, v7, v20
	v_add_f32_e32 v20, v27, v28
	v_sub_f32_e32 v28, v42, v18
	v_fma_f32 v45, v16, 2.0, -v5
	v_sub_f32_e32 v18, v56, v31
	v_fma_f32 v21, v21, 2.0, -v19
	v_dual_add_f32 v16, v8, v19 :: v_dual_sub_f32 v19, v26, v29
	s_delay_alu instid0(VALU_DEP_4)
	v_sub_f32_e32 v4, v2, v45
	v_fma_f32 v53, v3, 2.0, -v7
	v_fma_f32 v57, v32, 2.0, -v34
	;; [unrolled: 1-line block ×5, first 2 shown]
	v_dual_sub_f32 v5, v46, v5 :: v_dual_add_f32 v6, v47, v6
	v_sub_f32_e32 v3, v1, v44
	v_sub_f32_e32 v23, v34, v37
	;; [unrolled: 1-line block ×3, first 2 shown]
	v_add_f32_e32 v29, v43, v17
	v_sub_f32_e32 v17, v55, v30
	v_fma_f32 v40, v26, 2.0, -v19
	v_fma_f32 v41, v27, 2.0, -v20
	v_dual_sub_f32 v21, v57, v38 :: v_dual_sub_f32 v26, v59, v48
	v_sub_f32_e32 v27, v60, v49
	v_fma_f32 v32, v46, 2.0, -v5
	v_fma_f32 v33, v47, 2.0, -v6
	;; [unrolled: 1-line block ×18, first 2 shown]
	ds_store_b128 v139, v[21:24] offset:16
	ds_store_b128 v140, v[26:29] offset:16
	ds_store_b128 v135, v[30:33]
	ds_store_b128 v135, v[3:6] offset:16
	ds_store_b128 v135, v[34:37] offset:4096
	;; [unrolled: 1-line block ×7, first 2 shown]
	global_wb scope:SCOPE_SE
	s_wait_dscnt 0x0
	s_barrier_signal -1
	s_barrier_wait -1
	global_inv scope:SCOPE_SE
	s_clause 0x1
	global_load_b128 v[1:4], v[50:51], off
	global_load_b64 v[118:119], v[50:51], off offset:16
	v_lshlrev_b32_e32 v13, 2, v25
	v_and_or_b32 v5, 0x1f0, v9, v52
	v_and_or_b32 v18, 0x5f0, v10, v52
	ds_load_2addr_stride64_b64 v[26:29], v134 offset0:12 offset1:14
	v_and_or_b32 v22, 0x7f0, v11, v52
	v_and_or_b32 v14, 0x3f0, v13, v52
	v_lshlrev_b32_e32 v141, 3, v5
	ds_load_2addr_stride64_b64 v[5:8], v134 offset0:8 offset1:10
	v_lshlrev_b32_e32 v143, 3, v18
	ds_load_2addr_stride64_b64 v[18:21], v134 offset0:28 offset1:30
	;; [unrolled: 2-line block ×3, first 2 shown]
	v_and_or_b32 v23, 0x9f0, v12, v52
	ds_load_2addr_stride64_b64 v[30:33], v134 offset0:32 offset1:34
	ds_load_2addr_stride64_b64 v[34:37], v134 offset1:2
	ds_load_2addr_stride64_b64 v[38:41], v134 offset0:4 offset1:6
	ds_load_2addr_stride64_b64 v[42:45], v134 offset0:24 offset1:26
	;; [unrolled: 1-line block ×4, first 2 shown]
	v_and_b32_e32 v24, 15, v0
	v_lshlrev_b32_e32 v144, 3, v22
	global_wb scope:SCOPE_SE
	s_wait_loadcnt_dscnt 0x0
	v_lshlrev_b32_e32 v145, 3, v23
	s_barrier_signal -1
	v_and_or_b32 v9, 0x1c0, v9, v24
	v_mad_co_u64_u32 v[22:23], null, v24, 24, s[10:11]
	s_barrier_wait -1
	global_inv scope:SCOPE_SE
	v_lshrrev_b32_e32 v25, 6, v25
	v_lshlrev_b32_e32 v146, 3, v9
	s_delay_alu instid0(VALU_DEP_2) | instskip(SKIP_4) | instid1(VALU_DEP_3)
	v_mul_u32_u24_e32 v25, 0x280, v25
	v_mul_f32_e32 v122, v48, v2
	v_dual_mul_f32 v55, v7, v2 :: v_dual_mul_f32 v124, v18, v4
	v_dual_mul_f32 v57, v14, v4 :: v_dual_mul_f32 v126, v52, v119
	;; [unrolled: 1-line block ×3, first 2 shown]
	v_fmac_f32_e32 v124, v19, v3
	v_mul_f32_e32 v64, v31, v119
	v_mul_f32_e32 v54, v8, v2
	;; [unrolled: 1-line block ×3, first 2 shown]
	v_dual_mul_f32 v58, v21, v119 :: v_dual_mul_f32 v61, v26, v2
	v_fmac_f32_e32 v122, v49, v1
	v_mul_f32_e32 v62, v17, v4
	v_mul_f32_e32 v66, v29, v2
	;; [unrolled: 1-line block ×6, first 2 shown]
	v_fmac_f32_e32 v57, v15, v3
	v_mul_f32_e32 v67, v28, v2
	v_fma_f32 v15, v26, v1, -v60
	v_fmac_f32_e32 v63, v17, v3
	v_fma_f32 v17, v30, v118, -v64
	v_mul_f32_e32 v71, v32, v119
	v_dual_mul_f32 v65, v30, v119 :: v_dual_fmac_f32 v126, v53, v118
	v_mul_f32_e32 v68, v43, v4
	v_dual_mul_f32 v75, v44, v4 :: v_dual_mul_f32 v120, v50, v119
	v_mul_f32_e32 v59, v20, v119
	v_fma_f32 v7, v7, v1, -v54
	v_fmac_f32_e32 v61, v27, v1
	v_fma_f32 v16, v16, v3, -v62
	v_fma_f32 v26, v32, v118, -v70
	v_fmac_f32_e32 v71, v33, v118
	v_fma_f32 v27, v46, v1, -v72
	v_sub_f32_e32 v32, v35, v57
	v_fmac_f32_e32 v67, v29, v1
	v_fmac_f32_e32 v55, v8, v1
	v_fma_f32 v8, v14, v3, -v56
	v_fma_f32 v14, v20, v118, -v58
	;; [unrolled: 1-line block ×5, first 2 shown]
	v_mul_f32_e32 v69, v42, v4
	v_dual_mul_f32 v125, v53, v119 :: v_dual_fmac_f32 v120, v51, v118
	v_sub_f32_e32 v33, v36, v16
	v_fmac_f32_e32 v65, v31, v118
	v_dual_sub_f32 v31, v34, v8 :: v_dual_sub_f32 v8, v7, v14
	v_fmac_f32_e32 v59, v21, v118
	v_fma_f32 v21, v42, v3, -v68
	v_sub_f32_e32 v42, v37, v63
	v_fmac_f32_e32 v75, v45, v3
	v_dual_sub_f32 v45, v40, v28 :: v_dual_sub_f32 v28, v27, v29
	v_fmac_f32_e32 v69, v43, v3
	v_sub_f32_e32 v16, v15, v17
	v_fma_f32 v51, v34, 2.0, -v31
	v_fma_f32 v34, v7, 2.0, -v8
	v_add_f32_e32 v8, v32, v8
	v_fma_f32 v57, v40, 2.0, -v45
	v_fma_f32 v40, v27, 2.0, -v28
	v_sub_f32_e32 v43, v38, v21
	v_dual_sub_f32 v21, v20, v26 :: v_dual_sub_f32 v26, v67, v71
	v_dual_mul_f32 v73, v46, v2 :: v_dual_sub_f32 v14, v55, v59
	v_mul_f32_e32 v123, v19, v4
	v_fma_f32 v19, v52, v118, -v125
	v_fma_f32 v52, v35, 2.0, -v32
	v_fma_f32 v53, v36, 2.0, -v33
	;; [unrolled: 1-line block ×4, first 2 shown]
	v_fmac_f32_e32 v73, v47, v1
	v_fma_f32 v55, v38, 2.0, -v43
	v_fma_f32 v38, v20, 2.0, -v21
	;; [unrolled: 1-line block ×3, first 2 shown]
	s_delay_alu instid0(VALU_DEP_4) | instskip(NEXT) | instid1(VALU_DEP_3)
	v_dual_sub_f32 v50, v122, v126 :: v_dual_sub_f32 v29, v73, v120
	v_dual_sub_f32 v17, v61, v65 :: v_dual_sub_f32 v32, v55, v38
	v_sub_f32_e32 v46, v41, v75
	v_fma_f32 v18, v18, v3, -v123
	v_fma_f32 v54, v37, 2.0, -v42
	s_delay_alu instid0(VALU_DEP_4)
	v_fma_f32 v37, v61, 2.0, -v17
	v_fma_f32 v62, v122, 2.0, -v50
	;; [unrolled: 1-line block ×3, first 2 shown]
	v_sub_f32_e32 v47, v5, v18
	v_sub_f32_e32 v18, v45, v29
	v_dual_mul_f32 v121, v49, v2 :: v_dual_sub_f32 v44, v39, v69
	v_sub_f32_e32 v20, v51, v34
	s_delay_alu instid0(VALU_DEP_4) | instskip(SKIP_1) | instid1(VALU_DEP_4)
	v_fma_f32 v59, v5, 2.0, -v47
	v_add_f32_e32 v15, v42, v16
	v_fma_f32 v30, v48, v1, -v121
	v_sub_f32_e32 v48, v6, v124
	v_fma_f32 v56, v39, 2.0, -v44
	v_fma_f32 v39, v67, 2.0, -v26
	v_sub_f32_e32 v5, v47, v50
	v_sub_f32_e32 v49, v30, v19
	v_add_f32_e32 v19, v46, v28
	v_fma_f32 v60, v6, 2.0, -v48
	v_sub_f32_e32 v28, v53, v36
	v_fma_f32 v41, v73, 2.0, -v29
	v_fma_f32 v61, v30, 2.0, -v49
	v_sub_f32_e32 v36, v57, v40
	v_sub_f32_e32 v16, v43, v26
	v_add_f32_e32 v6, v48, v49
	v_sub_f32_e32 v29, v54, v37
	v_sub_f32_e32 v40, v59, v61
	v_dual_sub_f32 v7, v31, v14 :: v_dual_sub_f32 v14, v33, v17
	v_add_f32_e32 v17, v44, v21
	v_sub_f32_e32 v21, v52, v35
	v_sub_f32_e32 v37, v58, v41
	;; [unrolled: 1-line block ×3, first 2 shown]
	v_fma_f32 v30, v33, 2.0, -v14
	v_sub_f32_e32 v33, v56, v39
	v_fma_f32 v26, v31, 2.0, -v7
	v_fma_f32 v31, v42, 2.0, -v15
	;; [unrolled: 1-line block ×18, first 2 shown]
	ds_store_2addr_b64 v141, v[20:21], v[7:8] offset0:8 offset1:12
	ds_store_2addr_b64 v142, v[28:29], v[14:15] offset0:8 offset1:12
	ds_store_2addr_b64 v143, v[32:33], v[16:17] offset0:8 offset1:12
	ds_store_2addr_b64 v144, v[36:37], v[18:19] offset0:8 offset1:12
	ds_store_2addr_b64 v145, v[40:41], v[5:6] offset0:8 offset1:12
	ds_store_2addr_b64 v141, v[44:45], v[26:27] offset1:4
	ds_store_2addr_b64 v142, v[46:47], v[30:31] offset1:4
	;; [unrolled: 1-line block ×5, first 2 shown]
	global_wb scope:SCOPE_SE
	s_wait_dscnt 0x0
	s_barrier_signal -1
	s_barrier_wait -1
	global_inv scope:SCOPE_SE
	s_clause 0x1
	global_load_b128 v[5:8], v[22:23], off offset:96
	global_load_b64 v[120:121], v[22:23], off offset:112
	v_and_or_b32 v13, 0x3c0, v13, v24
	v_and_or_b32 v17, 0x5c0, v10, v24
	;; [unrolled: 1-line block ×4, first 2 shown]
	ds_load_2addr_stride64_b64 v[9:12], v134 offset0:8 offset1:10
	v_lshlrev_b32_e32 v147, 3, v13
	ds_load_2addr_stride64_b64 v[13:16], v134 offset0:20 offset1:22
	v_lshlrev_b32_e32 v148, 3, v17
	;; [unrolled: 2-line block ×4, first 2 shown]
	ds_load_2addr_stride64_b64 v[27:30], v134 offset0:32 offset1:34
	ds_load_2addr_stride64_b64 v[31:34], v134 offset1:2
	ds_load_2addr_stride64_b64 v[35:38], v134 offset0:4 offset1:6
	ds_load_2addr_stride64_b64 v[39:42], v134 offset0:24 offset1:26
	;; [unrolled: 1-line block ×4, first 2 shown]
	v_and_b32_e32 v26, 63, v0
	global_wb scope:SCOPE_SE
	s_wait_loadcnt_dscnt 0x0
	s_barrier_signal -1
	s_barrier_wait -1
	global_inv scope:SCOPE_SE
	v_mad_co_u64_u32 v[51:52], null, 0x48, v26, s[10:11]
	v_or_b32_e32 v25, v25, v26
	v_dual_mul_f32 v124, v18, v8 :: v_dual_mul_f32 v53, v12, v6
	v_mul_f32_e32 v126, v50, v121
	v_dual_mul_f32 v54, v11, v6 :: v_dual_mul_f32 v55, v14, v8
	v_dual_mul_f32 v56, v13, v8 :: v_dual_mul_f32 v57, v20, v121
	v_mul_f32_e32 v58, v19, v121
	v_dual_mul_f32 v60, v21, v6 :: v_dual_mul_f32 v61, v16, v8
	v_dual_mul_f32 v62, v15, v8 :: v_dual_mul_f32 v59, v22, v6
	v_mul_f32_e32 v70, v29, v121
	v_mul_f32_e32 v63, v28, v121
	;; [unrolled: 1-line block ×5, first 2 shown]
	v_fmac_f32_e32 v70, v30, v120
	s_delay_alu instid0(VALU_DEP_4)
	v_dual_mul_f32 v69, v30, v121 :: v_dual_fmac_f32 v64, v28, v120
	v_dual_mul_f32 v72, v43, v6 :: v_dual_mul_f32 v73, v42, v8
	v_fmac_f32_e32 v66, v24, v5
	v_dual_mul_f32 v74, v41, v8 :: v_dual_mul_f32 v65, v24, v6
	v_mul_f32_e32 v76, v47, v121
	v_mul_f32_e32 v122, v46, v6
	v_dual_mul_f32 v123, v45, v6 :: v_dual_fmac_f32 v68, v40, v7
	v_dual_mul_f32 v125, v17, v8 :: v_dual_fmac_f32 v72, v44, v5
	s_delay_alu instid0(VALU_DEP_4)
	v_dual_mul_f32 v127, v49, v121 :: v_dual_fmac_f32 v76, v48, v120
	v_fma_f32 v11, v11, v5, -v53
	v_fmac_f32_e32 v54, v12, v5
	v_fma_f32 v12, v13, v7, -v55
	v_dual_mul_f32 v71, v44, v6 :: v_dual_fmac_f32 v56, v14, v7
	v_fma_f32 v13, v19, v120, -v57
	v_mul_f32_e32 v67, v40, v8
	v_fmac_f32_e32 v58, v20, v120
	v_fmac_f32_e32 v60, v22, v5
	v_fma_f32 v15, v15, v7, -v61
	v_mul_f32_e32 v75, v48, v121
	v_fmac_f32_e32 v62, v16, v7
	v_fma_f32 v14, v21, v5, -v59
	v_fma_f32 v16, v27, v120, -v63
	v_sub_f32_e32 v30, v33, v15
	v_fma_f32 v21, v29, v120, -v69
	v_fmac_f32_e32 v74, v42, v7
	v_fma_f32 v19, v23, v5, -v65
	v_fma_f32 v23, v41, v7, -v73
	;; [unrolled: 1-line block ×4, first 2 shown]
	v_fmac_f32_e32 v123, v46, v5
	v_fma_f32 v17, v17, v7, -v124
	v_fmac_f32_e32 v127, v50, v120
	v_sub_f32_e32 v28, v31, v12
	v_fma_f32 v22, v43, v5, -v71
	v_dual_sub_f32 v29, v32, v56 :: v_dual_sub_f32 v42, v37, v23
	v_sub_f32_e32 v12, v11, v13
	v_fma_f32 v20, v39, v7, -v67
	v_fmac_f32_e32 v125, v18, v7
	v_fma_f32 v18, v49, v120, -v126
	v_sub_f32_e32 v13, v54, v58
	v_dual_sub_f32 v39, v34, v62 :: v_dual_sub_f32 v44, v9, v17
	s_delay_alu instid0(VALU_DEP_3)
	v_dual_sub_f32 v15, v14, v16 :: v_dual_sub_f32 v46, v27, v18
	v_sub_f32_e32 v16, v60, v64
	v_sub_f32_e32 v40, v35, v20
	v_dual_sub_f32 v41, v36, v68 :: v_dual_sub_f32 v20, v19, v21
	v_sub_f32_e32 v21, v66, v70
	v_fma_f32 v49, v32, 2.0, -v29
	v_fma_f32 v50, v33, 2.0, -v30
	;; [unrolled: 1-line block ×3, first 2 shown]
	v_dual_add_f32 v14, v39, v15 :: v_dual_sub_f32 v43, v38, v74
	v_sub_f32_e32 v45, v10, v125
	v_sub_f32_e32 v23, v22, v24
	;; [unrolled: 1-line block ×3, first 2 shown]
	v_fma_f32 v32, v54, 2.0, -v13
	v_sub_f32_e32 v47, v123, v127
	v_fma_f32 v48, v31, 2.0, -v28
	v_fma_f32 v31, v11, 2.0, -v12
	v_add_f32_e32 v12, v29, v12
	v_fma_f32 v53, v34, 2.0, -v39
	v_fma_f32 v34, v60, 2.0, -v16
	v_sub_f32_e32 v11, v28, v13
	v_sub_f32_e32 v13, v30, v16
	v_fma_f32 v54, v35, 2.0, -v40
	v_fma_f32 v55, v36, 2.0, -v41
	;; [unrolled: 1-line block ×4, first 2 shown]
	v_add_f32_e32 v16, v41, v20
	v_fma_f32 v56, v37, 2.0, -v42
	v_fma_f32 v57, v38, 2.0, -v43
	;; [unrolled: 1-line block ×6, first 2 shown]
	v_add_f32_e32 v10, v45, v46
	v_fma_f32 v37, v22, 2.0, -v23
	v_sub_f32_e32 v20, v49, v32
	v_fma_f32 v61, v123, 2.0, -v47
	v_sub_f32_e32 v15, v40, v21
	v_dual_sub_f32 v17, v42, v24 :: v_dual_add_f32 v18, v43, v23
	v_sub_f32_e32 v9, v44, v47
	v_sub_f32_e32 v19, v48, v31
	v_fma_f32 v22, v29, 2.0, -v12
	v_dual_sub_f32 v23, v50, v33 :: v_dual_sub_f32 v24, v53, v34
	v_sub_f32_e32 v29, v54, v35
	v_dual_sub_f32 v33, v56, v37 :: v_dual_sub_f32 v34, v57, v38
	v_fma_f32 v27, v30, 2.0, -v13
	v_sub_f32_e32 v30, v55, v36
	v_dual_sub_f32 v37, v58, v60 :: v_dual_sub_f32 v38, v59, v61
	v_fma_f32 v21, v28, 2.0, -v11
	v_fma_f32 v28, v39, 2.0, -v14
	;; [unrolled: 1-line block ×18, first 2 shown]
	ds_store_2addr_b64 v146, v[19:20], v[11:12] offset0:32 offset1:48
	ds_store_2addr_b64 v147, v[23:24], v[13:14] offset0:32 offset1:48
	;; [unrolled: 1-line block ×5, first 2 shown]
	ds_store_2addr_b64 v146, v[41:42], v[21:22] offset1:16
	ds_store_2addr_b64 v147, v[43:44], v[27:28] offset1:16
	;; [unrolled: 1-line block ×5, first 2 shown]
	global_wb scope:SCOPE_SE
	s_wait_dscnt 0x0
	s_barrier_signal -1
	s_barrier_wait -1
	global_inv scope:SCOPE_SE
	s_clause 0x4
	global_load_b128 v[21:24], v[51:52], off offset:480
	global_load_b128 v[17:20], v[51:52], off offset:496
	;; [unrolled: 1-line block ×4, first 2 shown]
	global_load_b64 v[122:123], v[51:52], off offset:544
	v_lshrrev_b32_e32 v27, 6, v0
	v_mad_co_u64_u32 v[67:68], null, v0, 24, s[10:11]
	s_add_nc_u64 s[10:11], s[8:9], 0x5000
	s_delay_alu instid0(VALU_DEP_2) | instskip(NEXT) | instid1(VALU_DEP_1)
	v_mul_u32_u24_e32 v27, 0x280, v27
	v_or_b32_e32 v39, v27, v26
	ds_load_2addr_stride64_b64 v[27:30], v134 offset0:4 offset1:6
	ds_load_2addr_stride64_b64 v[31:34], v134 offset0:8 offset1:10
	;; [unrolled: 1-line block ×3, first 2 shown]
	v_lshlrev_b32_e32 v152, 3, v39
	ds_load_2addr_stride64_b64 v[39:42], v134 offset0:16 offset1:18
	ds_load_2addr_stride64_b64 v[43:46], v134 offset0:20 offset1:22
	;; [unrolled: 1-line block ×4, first 2 shown]
	ds_load_2addr_stride64_b64 v[55:58], v134 offset1:2
	ds_load_2addr_stride64_b64 v[59:62], v134 offset0:32 offset1:34
	ds_load_2addr_stride64_b64 v[63:66], v134 offset0:36 offset1:38
	v_lshlrev_b32_e32 v151, 3, v25
	global_wb scope:SCOPE_SE
	s_wait_loadcnt_dscnt 0x0
	s_barrier_signal -1
	s_barrier_wait -1
	global_inv scope:SCOPE_SE
	v_dual_mul_f32 v25, v28, v22 :: v_dual_mul_f32 v154, v33, v24
	v_dual_mul_f32 v69, v27, v22 :: v_dual_mul_f32 v128, v60, v12
	v_mul_f32_e32 v26, v32, v24
	v_dual_mul_f32 v70, v31, v24 :: v_dual_mul_f32 v71, v36, v18
	v_mul_f32_e32 v158, v41, v20
	;; [unrolled: 2-line block ×4, first 2 shown]
	v_mul_f32_e32 v76, v43, v14
	v_mul_f32_e32 v124, v48, v16
	v_dual_mul_f32 v125, v47, v16 :: v_dual_mul_f32 v126, v52, v10
	v_dual_mul_f32 v127, v51, v10 :: v_dual_mul_f32 v130, v64, v123
	;; [unrolled: 1-line block ×4, first 2 shown]
	v_dual_mul_f32 v133, v29, v22 :: v_dual_fmac_f32 v70, v32, v23
	v_dual_mul_f32 v153, v34, v24 :: v_dual_mul_f32 v164, v53, v10
	v_dual_mul_f32 v155, v38, v18 :: v_dual_mul_f32 v166, v61, v12
	;; [unrolled: 1-line block ×3, first 2 shown]
	v_dual_mul_f32 v159, v46, v14 :: v_dual_fmac_f32 v72, v36, v17
	v_dual_mul_f32 v161, v50, v16 :: v_dual_fmac_f32 v74, v40, v19
	;; [unrolled: 1-line block ×3, first 2 shown]
	v_fma_f32 v169, v27, v21, -v25
	v_dual_fmac_f32 v69, v28, v21 :: v_dual_fmac_f32 v154, v34, v23
	v_fma_f32 v25, v31, v23, -v26
	v_mul_f32_e32 v165, v62, v12
	v_fma_f32 v26, v35, v17, -v71
	v_fma_f32 v27, v39, v19, -v73
	;; [unrolled: 1-line block ×4, first 2 shown]
	v_dual_fmac_f32 v125, v48, v15 :: v_dual_fmac_f32 v156, v38, v17
	v_dual_fmac_f32 v127, v52, v9 :: v_dual_fmac_f32 v158, v42, v19
	v_fma_f32 v35, v59, v11, -v128
	v_dual_fmac_f32 v129, v60, v11 :: v_dual_fmac_f32 v160, v46, v13
	v_mul_f32_e32 v167, v66, v123
	v_fma_f32 v32, v51, v9, -v126
	v_fma_f32 v36, v63, v122, -v130
	v_dual_fmac_f32 v131, v64, v122 :: v_dual_fmac_f32 v162, v50, v15
	v_fma_f32 v39, v29, v21, -v132
	v_dual_fmac_f32 v133, v30, v21 :: v_dual_sub_f32 v46, v25, v27
	v_fma_f32 v29, v33, v23, -v153
	v_fma_f32 v30, v37, v17, -v155
	;; [unrolled: 1-line block ×6, first 2 shown]
	v_dual_fmac_f32 v164, v54, v9 :: v_dual_add_f32 v43, v27, v31
	v_dual_fmac_f32 v166, v62, v11 :: v_dual_sub_f32 v49, v27, v25
	v_dual_fmac_f32 v168, v66, v122 :: v_dual_sub_f32 v47, v35, v31
	v_add_f32_e32 v42, v55, v25
	v_fma_f32 v40, v61, v11, -v165
	v_dual_sub_f32 v44, v70, v129 :: v_dual_add_f32 v51, v56, v70
	v_dual_sub_f32 v45, v74, v125 :: v_dual_add_f32 v48, v25, v35
	v_dual_sub_f32 v50, v31, v35 :: v_dual_sub_f32 v59, v129, v125
	v_dual_add_f32 v52, v74, v125 :: v_dual_sub_f32 v25, v25, v35
	v_dual_sub_f32 v53, v27, v31 :: v_dual_sub_f32 v54, v70, v74
	v_dual_add_f32 v60, v70, v129 :: v_dual_add_f32 v63, v169, v26
	v_dual_sub_f32 v75, v28, v26 :: v_dual_add_f32 v126, v69, v72
	v_dual_add_f32 v128, v76, v127 :: v_dual_add_f32 v159, v57, v29
	v_dual_sub_f32 v61, v74, v70 :: v_dual_add_f32 v64, v28, v32
	v_sub_f32_e32 v62, v125, v129
	v_fma_f32 v41, v65, v122, -v167
	v_dual_sub_f32 v65, v72, v131 :: v_dual_sub_f32 v70, v26, v28
	v_dual_sub_f32 v66, v76, v127 :: v_dual_add_f32 v73, v26, v36
	v_dual_sub_f32 v71, v36, v32 :: v_dual_sub_f32 v172, v33, v29
	v_dual_sub_f32 v124, v32, v36 :: v_dual_sub_f32 v153, v131, v127
	v_dual_sub_f32 v26, v26, v36 :: v_dual_add_f32 v155, v72, v131
	v_dual_sub_f32 v130, v28, v32 :: v_dual_sub_f32 v157, v127, v131
	v_dual_sub_f32 v132, v72, v76 :: v_dual_add_f32 v161, v33, v37
	;; [unrolled: 2-line block ×3, first 2 shown]
	v_dual_add_f32 v171, v29, v40 :: v_dual_sub_f32 v178, v166, v162
	v_sub_f32_e32 v173, v37, v40
	v_dual_sub_f32 v29, v29, v40 :: v_dual_sub_f32 v180, v162, v166
	v_dual_sub_f32 v177, v154, v158 :: v_dual_sub_f32 v184, v160, v164
	v_dual_add_f32 v179, v154, v166 :: v_dual_add_f32 v190, v133, v156
	v_sub_f32_e32 v154, v158, v154
	v_add_f32_e32 v181, v39, v30
	v_dual_add_f32 v182, v34, v38 :: v_dual_sub_f32 v183, v156, v168
	v_dual_sub_f32 v188, v34, v30 :: v_dual_add_f32 v191, v160, v164
	v_add_f32_e32 v195, v156, v168
	v_dual_sub_f32 v196, v164, v168 :: v_dual_add_f32 v27, v42, v27
	v_fma_f32 v42, -0.5, v43, v55
	v_add_f32_e32 v43, v46, v47
	v_fma_f32 v46, -0.5, v48, v55
	v_dual_add_f32 v47, v49, v50 :: v_dual_add_f32 v50, v54, v59
	v_add_f32_e32 v48, v51, v74
	v_fma_f32 v49, -0.5, v52, v56
	v_fma_f32 v51, -0.5, v60, v56
	v_dual_add_f32 v28, v63, v28 :: v_dual_add_f32 v55, v70, v71
	v_add_f32_e32 v59, v126, v76
	v_fma_f32 v60, -0.5, v128, v69
	v_dual_sub_f32 v165, v158, v162 :: v_dual_sub_f32 v170, v40, v37
	v_dual_add_f32 v175, v158, v162 :: v_dual_sub_f32 v176, v33, v37
	v_dual_sub_f32 v185, v30, v34 :: v_dual_sub_f32 v194, v168, v164
	v_dual_sub_f32 v186, v41, v38 :: v_dual_add_f32 v187, v30, v41
	v_sub_f32_e32 v189, v38, v41
	v_sub_f32_e32 v30, v30, v41
	v_dual_sub_f32 v192, v34, v38 :: v_dual_sub_f32 v193, v156, v160
	v_sub_f32_e32 v156, v160, v156
	v_add_f32_e32 v52, v61, v62
	v_fma_f32 v54, -0.5, v64, v169
	v_dual_fmac_f32 v169, -0.5, v73 :: v_dual_add_f32 v56, v75, v124
	v_dual_fmac_f32 v69, -0.5, v155 :: v_dual_add_f32 v70, v172, v173
	v_add_f32_e32 v62, v72, v157
	v_add_f32_e32 v33, v159, v33
	v_fma_f32 v63, -0.5, v161, v57
	v_fma_f32 v57, -0.5, v171, v57
	v_dual_add_f32 v71, v174, v158 :: v_dual_add_f32 v124, v188, v189
	v_dual_add_f32 v73, v177, v178 :: v_dual_add_f32 v74, v154, v180
	v_add_f32_e32 v34, v181, v34
	v_fma_f32 v75, -0.5, v182, v39
	v_dual_fmac_f32 v39, -0.5, v187 :: v_dual_add_f32 v126, v190, v160
	v_add_f32_e32 v27, v27, v31
	v_fma_f32 v128, -0.5, v191, v133
	v_fmamk_f32 v154, v44, 0x3f737871, v42
	v_dual_fmac_f32 v42, 0xbf737871, v44 :: v_dual_add_f32 v31, v48, v125
	v_dual_fmamk_f32 v155, v45, 0xbf737871, v46 :: v_dual_add_f32 v28, v28, v32
	v_dual_fmac_f32 v46, 0x3f737871, v45 :: v_dual_fmamk_f32 v125, v53, 0x3f737871, v51
	v_fmamk_f32 v48, v25, 0xbf737871, v49
	v_dual_fmac_f32 v51, 0xbf737871, v53 :: v_dual_add_f32 v32, v59, v127
	v_fmamk_f32 v59, v26, 0xbf737871, v60
	v_dual_fmac_f32 v60, 0x3f737871, v26 :: v_dual_fmamk_f32 v127, v130, 0x3f737871, v69
	v_dual_add_f32 v61, v132, v153 :: v_dual_add_f32 v64, v167, v170
	v_fma_f32 v72, -0.5, v175, v58
	v_fmac_f32_e32 v58, -0.5, v179
	v_dual_add_f32 v76, v185, v186 :: v_dual_fmac_f32 v133, -0.5, v195
	v_dual_add_f32 v132, v193, v194 :: v_dual_add_f32 v153, v156, v196
	v_dual_fmac_f32 v49, 0x3f737871, v25 :: v_dual_fmamk_f32 v156, v65, 0x3f737871, v54
	v_dual_fmac_f32 v54, 0xbf737871, v65 :: v_dual_fmamk_f32 v157, v66, 0xbf737871, v169
	v_dual_add_f32 v33, v33, v37 :: v_dual_fmamk_f32 v158, v163, 0x3f737871, v63
	v_dual_fmac_f32 v63, 0xbf737871, v163 :: v_dual_add_f32 v34, v34, v38
	v_dual_fmamk_f32 v159, v165, 0xbf737871, v57 :: v_dual_add_f32 v126, v126, v164
	v_dual_fmac_f32 v57, 0x3f737871, v165 :: v_dual_fmamk_f32 v160, v176, 0x3f737871, v58
	v_add_f32_e32 v37, v71, v162
	v_dual_fmamk_f32 v38, v183, 0x3f737871, v75 :: v_dual_add_f32 v33, v33, v40
	v_dual_fmac_f32 v75, 0xbf737871, v183 :: v_dual_fmamk_f32 v162, v30, 0xbf737871, v128
	v_dual_fmac_f32 v51, 0x3f167918, v25 :: v_dual_fmac_f32 v60, 0x3f167918, v130
	v_fmac_f32_e32 v169, 0x3f737871, v66
	v_dual_fmamk_f32 v71, v29, 0xbf737871, v72 :: v_dual_add_f32 v28, v28, v36
	v_fmac_f32_e32 v72, 0x3f737871, v29
	v_dual_fmamk_f32 v164, v192, 0x3f737871, v133 :: v_dual_add_f32 v27, v27, v35
	v_dual_fmac_f32 v46, 0xbf167918, v44 :: v_dual_add_f32 v31, v31, v129
	v_dual_fmac_f32 v48, 0xbf167918, v53 :: v_dual_fmac_f32 v127, 0xbf167918, v26
	v_dual_fmac_f32 v49, 0x3f167918, v53 :: v_dual_fmac_f32 v156, 0x3f167918, v66
	;; [unrolled: 1-line block ×7, first 2 shown]
	v_dual_fmamk_f32 v161, v184, 0xbf737871, v39 :: v_dual_add_f32 v34, v34, v41
	v_dual_fmac_f32 v133, 0xbf737871, v192 :: v_dual_add_f32 v32, v32, v131
	v_dual_fmac_f32 v154, 0x3f167918, v45 :: v_dual_fmac_f32 v155, 0x3f167918, v44
	v_dual_fmac_f32 v42, 0xbf167918, v45 :: v_dual_fmac_f32 v59, 0xbf167918, v130
	;; [unrolled: 1-line block ×3, first 2 shown]
	v_dual_fmac_f32 v169, 0xbf167918, v65 :: v_dual_add_f32 v36, v126, v168
	v_dual_fmac_f32 v159, 0x3f167918, v163 :: v_dual_fmac_f32 v58, 0x3f167918, v29
	v_dual_add_f32 v35, v37, v166 :: v_dual_fmac_f32 v38, 0x3f167918, v184
	v_dual_fmac_f32 v71, 0xbf167918, v176 :: v_dual_fmac_f32 v164, 0xbf167918, v30
	v_dual_fmac_f32 v46, 0x3e9e377a, v47 :: v_dual_fmac_f32 v51, 0x3e9e377a, v52
	;; [unrolled: 1-line block ×5, first 2 shown]
	v_mul_f32_e32 v55, 0xbf4f1bbd, v60
	v_dual_fmac_f32 v39, 0x3f737871, v184 :: v_dual_fmac_f32 v128, 0x3f737871, v30
	v_dual_fmac_f32 v69, 0x3f167918, v26 :: v_dual_fmac_f32 v158, 0x3f167918, v165
	v_fmac_f32_e32 v161, 0x3f167918, v183
	v_fmac_f32_e32 v133, 0x3f167918, v30
	v_dual_fmac_f32 v154, 0x3e9e377a, v43 :: v_dual_fmac_f32 v49, 0x3e9e377a, v50
	v_dual_fmac_f32 v155, 0x3e9e377a, v47 :: v_dual_fmac_f32 v48, 0x3e9e377a, v50
	;; [unrolled: 1-line block ×5, first 2 shown]
	v_dual_mul_f32 v50, 0xbf167918, v156 :: v_dual_fmac_f32 v55, 0xbf167918, v54
	v_mul_f32_e32 v61, 0x3f167918, v162
	v_dual_fmac_f32 v39, 0xbf167918, v183 :: v_dual_add_f32 v26, v31, v32
	v_fmac_f32_e32 v128, 0x3f167918, v192
	v_dual_fmac_f32 v42, 0x3e9e377a, v43 :: v_dual_fmac_f32 v125, 0x3e9e377a, v52
	v_dual_fmac_f32 v69, 0x3e9e377a, v62 :: v_dual_fmac_f32 v72, 0x3e9e377a, v73
	v_dual_add_f32 v25, v27, v28 :: v_dual_fmac_f32 v160, 0x3e9e377a, v74
	v_dual_sub_f32 v27, v27, v28 :: v_dual_fmac_f32 v58, 0x3e9e377a, v74
	v_dual_sub_f32 v28, v31, v32 :: v_dual_fmac_f32 v133, 0x3e9e377a, v153
	v_dual_add_f32 v30, v35, v36 :: v_dual_mul_f32 v43, 0x3f737871, v127
	v_mul_f32_e32 v62, 0x3f737871, v164
	v_add_f32_e32 v40, v49, v55
	v_dual_fmac_f32 v50, 0x3f4f1bbd, v59 :: v_dual_fmac_f32 v61, 0x3f4f1bbd, v38
	v_fmac_f32_e32 v161, 0x3e9e377a, v124
	v_dual_fmac_f32 v75, 0xbf167918, v184 :: v_dual_mul_f32 v66, 0xbf167918, v38
	v_dual_fmac_f32 v71, 0x3e9e377a, v73 :: v_dual_fmac_f32 v128, 0x3e9e377a, v132
	v_dual_add_f32 v29, v33, v34 :: v_dual_sub_f32 v32, v35, v36
	v_dual_sub_f32 v31, v33, v34 :: v_dual_mul_f32 v44, 0xbe9e377a, v169
	v_dual_mul_f32 v73, 0xbe9e377a, v133 :: v_dual_add_f32 v34, v48, v50
	v_dual_fmac_f32 v39, 0x3e9e377a, v124 :: v_dual_fmac_f32 v62, 0x3e9e377a, v161
	v_mul_f32_e32 v52, 0xbf737871, v157
	v_dual_mul_f32 v47, 0xbf4f1bbd, v54 :: v_dual_mul_f32 v74, 0xbf4f1bbd, v128
	s_delay_alu instid0(VALU_DEP_3) | instskip(SKIP_1) | instid1(VALU_DEP_4)
	v_dual_mul_f32 v53, 0xbe9e377a, v69 :: v_dual_mul_f32 v64, 0xbe9e377a, v39
	v_fmac_f32_e32 v73, 0xbf737871, v39
	v_dual_fmac_f32 v75, 0x3e9e377a, v76 :: v_dual_fmac_f32 v52, 0x3e9e377a, v127
	v_mul_f32_e32 v41, 0x3f167918, v59
	v_fmac_f32_e32 v43, 0x3e9e377a, v157
	v_mul_f32_e32 v70, 0xbf737871, v161
	s_delay_alu instid0(VALU_DEP_4)
	v_mul_f32_e32 v65, 0xbf4f1bbd, v75
	v_fmac_f32_e32 v53, 0xbf737871, v169
	v_fmac_f32_e32 v47, 0x3f167918, v60
	;; [unrolled: 1-line block ×3, first 2 shown]
	v_add_f32_e32 v36, v125, v52
	v_dual_fmac_f32 v41, 0x3f4f1bbd, v156 :: v_dual_fmac_f32 v66, 0x3f4f1bbd, v162
	v_fmac_f32_e32 v74, 0xbf167918, v75
	v_dual_add_f32 v35, v155, v43 :: v_dual_fmac_f32 v70, 0x3e9e377a, v164
	s_delay_alu instid0(VALU_DEP_3)
	v_add_f32_e32 v33, v154, v41
	v_dual_add_f32 v39, v42, v47 :: v_dual_fmac_f32 v64, 0x3f737871, v133
	v_add_f32_e32 v37, v46, v44
	v_dual_sub_f32 v45, v46, v44 :: v_dual_add_f32 v56, v72, v74
	v_dual_sub_f32 v46, v51, v53 :: v_dual_sub_f32 v47, v42, v47
	v_sub_f32_e32 v60, v71, v66
	v_dual_sub_f32 v42, v48, v50 :: v_dual_fmac_f32 v65, 0x3f167918, v128
	v_add_f32_e32 v50, v71, v66
	v_sub_f32_e32 v48, v49, v55
	v_add_f32_e32 v38, v51, v53
	v_sub_f32_e32 v41, v154, v41
	v_dual_sub_f32 v43, v155, v43 :: v_dual_add_f32 v54, v58, v73
	v_dual_sub_f32 v44, v125, v52 :: v_dual_add_f32 v49, v158, v61
	v_dual_add_f32 v51, v159, v62 :: v_dual_sub_f32 v58, v58, v73
	v_add_f32_e32 v53, v57, v64
	v_dual_add_f32 v55, v63, v65 :: v_dual_add_f32 v52, v160, v70
	v_sub_f32_e32 v59, v158, v61
	v_sub_f32_e32 v61, v159, v62
	;; [unrolled: 1-line block ×3, first 2 shown]
	v_dual_sub_f32 v63, v63, v65 :: v_dual_sub_f32 v62, v160, v70
	v_sub_f32_e32 v64, v72, v74
	ds_store_2addr_stride64_b64 v152, v[25:26], v[33:34] offset1:1
	ds_store_2addr_stride64_b64 v152, v[35:36], v[37:38] offset0:2 offset1:3
	ds_store_2addr_stride64_b64 v152, v[39:40], v[27:28] offset0:4 offset1:5
	;; [unrolled: 1-line block ×4, first 2 shown]
	ds_store_2addr_stride64_b64 v151, v[29:30], v[49:50] offset1:1
	ds_store_2addr_stride64_b64 v151, v[51:52], v[53:54] offset0:2 offset1:3
	ds_store_2addr_stride64_b64 v151, v[55:56], v[31:32] offset0:4 offset1:5
	;; [unrolled: 1-line block ×4, first 2 shown]
	global_wb scope:SCOPE_SE
	s_wait_dscnt 0x0
	s_barrier_signal -1
	s_barrier_wait -1
	global_inv scope:SCOPE_SE
	s_clause 0x9
	global_load_b128 v[25:28], v[67:68], off offset:5088
	global_load_b64 v[124:125], v[67:68], off offset:5104
	global_load_b128 v[29:32], v[67:68], off offset:8160
	global_load_b64 v[126:127], v[67:68], off offset:8176
	;; [unrolled: 2-line block ×5, first 2 shown]
	ds_load_2addr_stride64_b64 v[45:48], v134 offset0:8 offset1:10
	ds_load_2addr_stride64_b64 v[49:52], v134 offset0:20 offset1:22
	;; [unrolled: 1-line block ×6, first 2 shown]
	ds_load_2addr_stride64_b64 v[69:72], v134 offset1:2
	ds_load_2addr_stride64_b64 v[73:76], v134 offset0:4 offset1:6
	ds_load_2addr_stride64_b64 v[153:156], v134 offset0:16 offset1:18
	ds_load_2addr_stride64_b64 v[157:160], v134 offset0:36 offset1:38
	s_wait_loadcnt_dscnt 0x909
	v_mul_f32_e32 v161, v48, v26
	v_mul_f32_e32 v162, v47, v26
	s_wait_loadcnt_dscnt 0x708
	v_mul_f32_e32 v170, v51, v32
	s_wait_loadcnt_dscnt 0x605
	v_dual_mul_f32 v163, v50, v28 :: v_dual_mul_f32 v172, v61, v127
	v_dual_mul_f32 v164, v49, v28 :: v_dual_mul_f32 v165, v56, v125
	s_wait_loadcnt 0x5
	v_mul_f32_e32 v174, v59, v34
	s_wait_dscnt 0x4
	v_mul_f32_e32 v176, v65, v36
	v_dual_mul_f32 v166, v55, v125 :: v_dual_mul_f32 v167, v58, v30
	s_wait_loadcnt 0x4
	v_mul_f32_e32 v178, v63, v129
	v_dual_mul_f32 v168, v57, v30 :: v_dual_mul_f32 v169, v52, v32
	s_wait_loadcnt_dscnt 0x301
	v_mul_f32_e32 v180, v153, v38
	s_wait_loadcnt_dscnt 0x200
	v_dual_mul_f32 v173, v60, v34 :: v_dual_mul_f32 v184, v157, v131
	s_wait_loadcnt 0x1
	v_dual_mul_f32 v175, v66, v36 :: v_dual_mul_f32 v186, v155, v42
	v_dual_mul_f32 v177, v64, v129 :: v_dual_mul_f32 v188, v53, v44
	s_wait_loadcnt 0x0
	v_dual_mul_f32 v179, v154, v38 :: v_dual_mul_f32 v190, v159, v133
	v_dual_mul_f32 v181, v68, v40 :: v_dual_fmac_f32 v164, v50, v27
	v_dual_mul_f32 v183, v158, v131 :: v_dual_fmac_f32 v162, v48, v25
	;; [unrolled: 1-line block ×3, first 2 shown]
	v_fma_f32 v47, v47, v25, -v161
	v_fma_f32 v48, v49, v27, -v163
	;; [unrolled: 1-line block ×3, first 2 shown]
	v_fmac_f32_e32 v176, v66, v35
	v_dual_mul_f32 v171, v62, v127 :: v_dual_mul_f32 v182, v67, v40
	v_dual_mul_f32 v185, v156, v42 :: v_dual_fmac_f32 v168, v58, v29
	v_dual_mul_f32 v189, v160, v133 :: v_dual_fmac_f32 v172, v62, v126
	v_fma_f32 v50, v57, v29, -v167
	v_fma_f32 v55, v59, v33, -v173
	v_fmac_f32_e32 v174, v60, v33
	v_fma_f32 v57, v63, v128, -v177
	v_sub_f32_e32 v63, v70, v164
	v_fmac_f32_e32 v178, v64, v128
	v_fmac_f32_e32 v166, v56, v124
	v_fma_f32 v56, v65, v35, -v175
	v_fma_f32 v58, v153, v37, -v179
	;; [unrolled: 1-line block ×3, first 2 shown]
	v_fmac_f32_e32 v180, v154, v37
	v_fma_f32 v60, v157, v130, -v183
	v_fma_f32 v53, v53, v43, -v187
	v_fmac_f32_e32 v184, v158, v130
	v_sub_f32_e32 v65, v72, v170
	v_dual_fmac_f32 v186, v156, v41 :: v_dual_sub_f32 v67, v74, v176
	v_sub_f32_e32 v62, v69, v48
	v_sub_f32_e32 v48, v47, v49
	v_fma_f32 v51, v51, v31, -v169
	v_fma_f32 v52, v61, v126, -v171
	;; [unrolled: 1-line block ×3, first 2 shown]
	v_sub_f32_e32 v153, v75, v59
	v_sub_f32_e32 v59, v58, v60
	v_dual_sub_f32 v155, v45, v53 :: v_dual_sub_f32 v60, v180, v184
	v_fma_f32 v158, v69, 2.0, -v62
	v_fma_f32 v69, v47, 2.0, -v48
	v_sub_f32_e32 v66, v73, v56
	s_delay_alu instid0(VALU_DEP_4) | instskip(SKIP_4) | instid1(VALU_DEP_3)
	v_dual_sub_f32 v56, v55, v57 :: v_dual_sub_f32 v53, v153, v60
	v_sub_f32_e32 v57, v174, v178
	v_dual_sub_f32 v49, v162, v166 :: v_dual_fmac_f32 v190, v160, v132
	v_fmac_f32_e32 v182, v68, v39
	v_dual_sub_f32 v64, v71, v51 :: v_dual_sub_f32 v51, v50, v52
	v_sub_f32_e32 v47, v62, v49
	s_delay_alu instid0(VALU_DEP_4) | instskip(NEXT) | instid1(VALU_DEP_3)
	v_dual_sub_f32 v157, v186, v190 :: v_dual_sub_f32 v52, v168, v172
	v_fma_f32 v160, v71, 2.0, -v64
	s_delay_alu instid0(VALU_DEP_4) | instskip(SKIP_1) | instid1(VALU_DEP_4)
	v_fma_f32 v71, v50, 2.0, -v51
	v_fma_f32 v166, v45, 2.0, -v155
	v_dual_sub_f32 v45, v155, v157 :: v_dual_add_f32 v50, v65, v51
	v_sub_f32_e32 v51, v66, v57
	v_fmac_f32_e32 v188, v54, v43
	v_fma_f32 v54, v159, v132, -v189
	v_fma_f32 v159, v70, 2.0, -v63
	v_fma_f32 v70, v162, 2.0, -v49
	v_sub_f32_e32 v49, v64, v52
	v_sub_f32_e32 v156, v46, v188
	v_add_f32_e32 v48, v63, v48
	v_fma_f32 v161, v72, 2.0, -v65
	v_fma_f32 v72, v168, 2.0, -v52
	;; [unrolled: 1-line block ×4, first 2 shown]
	v_sub_f32_e32 v154, v76, v182
	v_add_f32_e32 v52, v67, v56
	v_fma_f32 v75, v75, 2.0, -v153
	v_fma_f32 v164, v58, 2.0, -v59
	v_sub_f32_e32 v68, v61, v54
	v_fma_f32 v163, v74, 2.0, -v67
	v_fma_f32 v74, v174, 2.0, -v57
	;; [unrolled: 1-line block ×4, first 2 shown]
	v_sub_f32_e32 v55, v158, v69
	v_fma_f32 v57, v62, 2.0, -v47
	v_fma_f32 v58, v63, 2.0, -v48
	;; [unrolled: 1-line block ×3, first 2 shown]
	v_sub_f32_e32 v63, v162, v73
	v_fma_f32 v76, v76, 2.0, -v154
	v_add_f32_e32 v54, v154, v59
	v_sub_f32_e32 v59, v160, v71
	v_fma_f32 v167, v46, 2.0, -v156
	v_fma_f32 v65, v66, 2.0, -v51
	;; [unrolled: 1-line block ×3, first 2 shown]
	v_sub_f32_e32 v67, v75, v164
	v_fma_f32 v168, v61, 2.0, -v68
	v_add_f32_e32 v46, v156, v68
	v_sub_f32_e32 v56, v159, v70
	v_sub_f32_e32 v60, v161, v72
	v_fma_f32 v61, v64, 2.0, -v49
	v_sub_f32_e32 v64, v163, v74
	v_dual_sub_f32 v68, v76, v165 :: v_dual_sub_f32 v71, v166, v168
	v_sub_f32_e32 v72, v167, v169
	v_fma_f32 v69, v153, 2.0, -v53
	v_fma_f32 v70, v154, 2.0, -v54
	v_fma_f32 v73, v155, 2.0, -v45
	v_fma_f32 v74, v156, 2.0, -v46
	ds_store_2addr_stride64_b64 v134, v[49:50], v[51:52] offset0:32 offset1:34
	ds_store_2addr_stride64_b64 v134, v[53:54], v[45:46] offset0:36 offset1:38
	v_fma_f32 v45, v158, 2.0, -v55
	v_fma_f32 v46, v159, 2.0, -v56
	;; [unrolled: 1-line block ×10, first 2 shown]
	ds_store_2addr_stride64_b64 v134, v[55:56], v[59:60] offset0:20 offset1:22
	ds_store_2addr_stride64_b64 v134, v[61:62], v[65:66] offset0:12 offset1:14
	;; [unrolled: 1-line block ×5, first 2 shown]
	ds_store_2addr_stride64_b64 v134, v[45:46], v[49:50] offset1:2
	ds_store_2addr_stride64_b64 v134, v[51:52], v[53:54] offset0:4 offset1:6
	ds_store_2addr_stride64_b64 v134, v[75:76], v[57:58] offset0:8 offset1:10
	global_wb scope:SCOPE_SE
	s_wait_dscnt 0x0
	s_barrier_signal -1
	s_barrier_wait -1
	global_inv scope:SCOPE_SE
	s_clause 0x13
	global_load_b64 v[161:162], v134, s[8:9] offset:20480
	global_load_b64 v[163:164], v134, s[10:11] offset:5120
	;; [unrolled: 1-line block ×20, first 2 shown]
	ds_load_2addr_stride64_b64 v[45:48], v134 offset1:2
	ds_load_2addr_stride64_b64 v[49:52], v134 offset0:8 offset1:10
	ds_load_2addr_stride64_b64 v[53:56], v134 offset0:20 offset1:22
	;; [unrolled: 1-line block ×9, first 2 shown]
	s_mov_b32 s8, 0x9999999a
	s_mov_b32 s9, 0x3f399999
	s_wait_loadcnt_dscnt 0x1309
	v_mul_f32_e32 v201, v46, v162
	s_wait_loadcnt_dscnt 0x1208
	v_dual_mul_f32 v202, v45, v162 :: v_dual_mul_f32 v207, v52, v164
	s_wait_loadcnt 0xf
	v_dual_mul_f32 v162, v51, v164 :: v_dual_mul_f32 v205, v48, v170
	v_mul_f32_e32 v206, v47, v170
	s_wait_loadcnt_dscnt 0xd07
	v_mul_f32_e32 v210, v56, v174
	v_mul_f32_e32 v204, v53, v166
	;; [unrolled: 1-line block ×3, first 2 shown]
	v_fma_f32 v205, v47, v169, -v205
	v_fmac_f32_e32 v206, v48, v169
	v_fma_f32 v169, v55, v173, -v210
	v_mul_f32_e32 v203, v54, v166
	s_wait_dscnt 0x5
	v_mul_f32_e32 v209, v62, v172
	v_mul_f32_e32 v166, v61, v172
	s_wait_loadcnt_dscnt 0x400
	v_mul_f32_e32 v55, v157, v192
	v_mul_f32_e32 v208, v60, v168
	v_mul_f32_e32 v213, v64, v180
	v_mul_f32_e32 v174, v63, v180
	v_mul_f32_e32 v211, v66, v176
	v_mul_f32_e32 v215, v68, v184
	v_fma_f32 v201, v45, v161, -v201
	v_fmac_f32_e32 v202, v46, v161
	v_mul_f32_e32 v46, v67, v184
	v_fma_f32 v161, v51, v163, -v207
	s_wait_loadcnt 0x1
	v_dual_mul_f32 v51, v57, v198 :: v_dual_mul_f32 v164, v59, v168
	v_mul_f32_e32 v168, v65, v176
	v_mul_f32_e32 v212, v70, v178
	v_mul_f32_e32 v172, v69, v178
	v_mul_f32_e32 v184, v72, v186
	v_mul_f32_e32 v48, v71, v186
	v_mul_f32_e32 v186, v154, v188
	v_mul_f32_e32 v178, v153, v188
	v_mul_f32_e32 v188, v76, v190
	v_mul_f32_e32 v180, v49, v194
	v_fmac_f32_e32 v162, v52, v163
	v_fmac_f32_e32 v55, v158, v191
	v_fma_f32 v163, v59, v167, -v208
	s_wait_loadcnt 0x0
	v_dual_mul_f32 v59, v159, v200 :: v_dual_fmac_f32 v204, v54, v165
	v_mul_f32_e32 v54, v158, v192
	v_mul_f32_e32 v192, v58, v198
	;; [unrolled: 1-line block ×4, first 2 shown]
	v_fma_f32 v203, v53, v165, -v203
	v_dual_mul_f32 v53, v75, v190 :: v_dual_fmac_f32 v170, v56, v173
	v_mul_f32_e32 v56, v50, v194
	v_mul_f32_e32 v190, v156, v196
	;; [unrolled: 1-line block ×4, first 2 shown]
	v_fma_f32 v165, v61, v171, -v209
	v_fmac_f32_e32 v166, v62, v171
	v_fma_f32 v173, v63, v179, -v213
	v_fmac_f32_e32 v174, v64, v179
	v_fmac_f32_e32 v168, v66, v175
	v_fma_f32 v45, v67, v183, -v215
	v_dual_fmac_f32 v46, v68, v183 :: v_dual_fmac_f32 v51, v58, v197
	v_fmac_f32_e32 v164, v60, v167
	v_fma_f32 v167, v65, v175, -v211
	v_fma_f32 v171, v69, v177, -v212
	v_fmac_f32_e32 v172, v70, v177
	v_fma_f32 v47, v71, v185, -v184
	v_fmac_f32_e32 v48, v72, v185
	v_fma_f32 v52, v75, v189, -v188
	v_fmac_f32_e32 v180, v50, v193
	v_fma_f32 v50, v57, v197, -v192
	v_fma_f32 v175, v73, v181, -v214
	v_fmac_f32_e32 v176, v74, v181
	v_fma_f32 v177, v153, v187, -v186
	v_dual_fmac_f32 v178, v154, v187 :: v_dual_fmac_f32 v53, v76, v189
	v_fma_f32 v54, v157, v191, -v54
	v_fma_f32 v179, v49, v193, -v56
	;; [unrolled: 1-line block ×3, first 2 shown]
	v_fmac_f32_e32 v182, v156, v195
	v_fma_f32 v58, v159, v199, -v194
	v_fmac_f32_e32 v59, v160, v199
	ds_store_2addr_stride64_b64 v134, v[201:202], v[205:206] offset1:2
	ds_store_2addr_stride64_b64 v134, v[203:204], v[169:170] offset0:20 offset1:22
	ds_store_2addr_stride64_b64 v134, v[165:166], v[173:174] offset0:12 offset1:14
	;; [unrolled: 1-line block ×9, first 2 shown]
	global_wb scope:SCOPE_SE
	s_wait_dscnt 0x0
	s_barrier_signal -1
	s_barrier_wait -1
	global_inv scope:SCOPE_SE
	ds_load_2addr_stride64_b64 v[49:52], v134 offset1:2
	ds_load_2addr_stride64_b64 v[65:68], v134 offset0:20 offset1:22
	ds_load_2addr_stride64_b64 v[45:48], v134 offset0:8 offset1:10
	;; [unrolled: 1-line block ×9, first 2 shown]
	v_mad_co_u64_u32 v[161:162], null, s6, v117, 0
	v_mad_co_u64_u32 v[163:164], null, s4, v0, 0
	global_wb scope:SCOPE_SE
	s_wait_dscnt 0x0
	s_barrier_signal -1
	s_barrier_wait -1
	global_inv scope:SCOPE_SE
	v_dual_sub_f32 v65, v49, v65 :: v_dual_sub_f32 v66, v50, v66
	v_dual_sub_f32 v63, v47, v63 :: v_dual_sub_f32 v64, v48, v64
	;; [unrolled: 1-line block ×10, first 2 shown]
	v_fma_f32 v167, v49, 2.0, -v65
	v_fma_f32 v168, v50, 2.0, -v66
	;; [unrolled: 1-line block ×20, first 2 shown]
	v_dual_add_f32 v47, v65, v64 :: v_dual_sub_f32 v48, v66, v63
	v_dual_sub_f32 v45, v167, v49 :: v_dual_sub_f32 v46, v168, v50
	v_dual_add_f32 v51, v165, v68 :: v_dual_sub_f32 v52, v166, v67
	v_dual_add_f32 v55, v69, v72 :: v_dual_sub_f32 v56, v70, v71
	v_dual_sub_f32 v49, v169, v53 :: v_dual_sub_f32 v50, v170, v54
	v_dual_add_f32 v59, v73, v76 :: v_dual_sub_f32 v60, v74, v75
	v_dual_add_f32 v63, v157, v62 :: v_dual_sub_f32 v64, v158, v61
	v_dual_sub_f32 v53, v171, v57 :: v_dual_sub_f32 v54, v172, v58
	v_dual_sub_f32 v57, v173, v153 :: v_dual_sub_f32 v58, v174, v154
	;; [unrolled: 1-line block ×3, first 2 shown]
	v_fma_f32 v67, v65, 2.0, -v47
	v_fma_f32 v68, v66, 2.0, -v48
	v_fma_f32 v65, v167, 2.0, -v45
	v_fma_f32 v66, v168, 2.0, -v46
	v_fma_f32 v71, v165, 2.0, -v51
	v_fma_f32 v72, v166, 2.0, -v52
	v_fma_f32 v75, v69, 2.0, -v55
	v_fma_f32 v76, v70, 2.0, -v56
	v_fma_f32 v69, v169, 2.0, -v49
	v_fma_f32 v70, v170, 2.0, -v50
	v_fma_f32 v155, v73, 2.0, -v59
	v_fma_f32 v156, v74, 2.0, -v60
	v_fma_f32 v159, v157, 2.0, -v63
	v_fma_f32 v160, v158, 2.0, -v64
	v_fma_f32 v73, v171, 2.0, -v53
	v_fma_f32 v74, v172, 2.0, -v54
	v_fma_f32 v153, v173, 2.0, -v57
	v_fma_f32 v154, v174, 2.0, -v58
	v_fma_f32 v157, v175, 2.0, -v61
	v_fma_f32 v158, v176, 2.0, -v62
	ds_store_b128 v139, v[57:60] offset:16
	ds_store_b128 v140, v[61:64] offset:16
	ds_store_b128 v135, v[65:68]
	ds_store_b128 v135, v[45:48] offset:16
	ds_store_b128 v135, v[69:72] offset:4096
	ds_store_b128 v137, v[49:52] offset:16
	ds_store_b128 v136, v[73:76] offset:8192
	ds_store_b128 v138, v[53:56] offset:16
	ds_store_b128 v136, v[153:156] offset:12288
	ds_store_b128 v136, v[157:160] offset:16384
	global_wb scope:SCOPE_SE
	s_wait_dscnt 0x0
	s_barrier_signal -1
	s_barrier_wait -1
	global_inv scope:SCOPE_SE
	v_mov_b32_e32 v61, v162
	ds_load_2addr_stride64_b64 v[49:52], v134 offset0:20 offset1:22
	v_mov_b32_e32 v62, v164
	ds_load_2addr_stride64_b64 v[45:48], v134 offset0:8 offset1:10
	ds_load_2addr_stride64_b64 v[53:56], v134 offset0:28 offset1:30
	;; [unrolled: 1-line block ×3, first 2 shown]
	v_mad_co_u64_u32 v[139:140], null, s7, v117, v[61:62]
	v_mad_co_u64_u32 v[157:158], null, s5, v0, v[62:63]
	ds_load_2addr_stride64_b64 v[61:64], v134 offset0:32 offset1:34
	ds_load_2addr_stride64_b64 v[65:68], v134 offset1:2
	ds_load_2addr_stride64_b64 v[69:72], v134 offset0:4 offset1:6
	ds_load_2addr_stride64_b64 v[73:76], v134 offset0:24 offset1:26
	;; [unrolled: 1-line block ×4, first 2 shown]
	global_wb scope:SCOPE_SE
	s_wait_dscnt 0x0
	s_barrier_signal -1
	s_barrier_wait -1
	global_inv scope:SCOPE_SE
	s_mul_u64 s[6:7], s[4:5], 0x1400
	v_mul_f32_e32 v165, v4, v52
	v_mul_f32_e32 v166, v4, v51
	v_dual_mul_f32 v182, v4, v54 :: v_dual_mul_f32 v169, v2, v60
	v_mul_f32_e32 v170, v2, v59
	v_mul_f32_e32 v168, v119, v61
	v_fmac_f32_e32 v165, v3, v51
	v_dual_mul_f32 v167, v119, v62 :: v_dual_mul_f32 v178, v4, v75
	v_mul_f32_e32 v181, v2, v138
	v_mul_f32_e32 v183, v119, v156
	;; [unrolled: 1-line block ×4, first 2 shown]
	v_fma_f32 v51, v3, v52, -v166
	v_fma_f32 v52, v118, v62, -v168
	v_fmac_f32_e32 v169, v1, v59
	v_fma_f32 v59, v3, v76, -v178
	v_fmac_f32_e32 v181, v1, v137
	v_dual_fmac_f32 v182, v3, v53 :: v_dual_fmac_f32 v183, v118, v155
	v_dual_sub_f32 v62, v67, v165 :: v_dual_mul_f32 v117, v2, v47
	v_mul_f32_e32 v159, v119, v56
	v_mul_f32_e32 v160, v119, v55
	;; [unrolled: 1-line block ×3, first 2 shown]
	v_dual_mul_f32 v164, v2, v57 :: v_dual_mul_f32 v173, v119, v64
	v_mul_f32_e32 v174, v119, v63
	v_dual_mul_f32 v176, v2, v135 :: v_dual_mul_f32 v179, v119, v154
	v_mul_f32_e32 v180, v119, v153
	v_mul_f32_e32 v119, v119, v155
	v_fmac_f32_e32 v175, v1, v135
	v_fmac_f32_e32 v177, v3, v75
	v_dual_sub_f32 v75, v72, v59 :: v_dual_sub_f32 v76, v45, v182
	v_sub_f32_e32 v59, v181, v183
	v_fma_f32 v135, v67, 2.0, -v62
	v_mul_f32_e32 v0, v2, v48
	v_mul_f32_e32 v2, v2, v137
	;; [unrolled: 1-line block ×4, first 2 shown]
	v_dual_mul_f32 v172, v4, v73 :: v_dual_fmac_f32 v159, v118, v55
	v_fmac_f32_e32 v167, v118, v61
	v_fma_f32 v55, v1, v60, -v170
	v_fma_f32 v60, v118, v154, -v180
	;; [unrolled: 1-line block ×4, first 2 shown]
	v_fma_f32 v154, v45, 2.0, -v76
	v_fma_f32 v156, v181, 2.0, -v59
	v_mul_f32_e32 v158, v4, v49
	v_mul_f32_e32 v4, v4, v53
	v_fmac_f32_e32 v0, v1, v47
	v_fma_f32 v47, v1, v48, -v117
	v_fmac_f32_e32 v140, v3, v49
	v_fma_f32 v48, v3, v50, -v158
	v_fma_f32 v49, v118, v56, -v160
	v_fmac_f32_e32 v162, v1, v57
	v_fma_f32 v50, v1, v58, -v164
	v_fmac_f32_e32 v171, v3, v73
	v_fma_f32 v56, v3, v74, -v172
	v_fmac_f32_e32 v173, v118, v63
	v_fma_f32 v57, v118, v64, -v174
	v_fma_f32 v58, v1, v136, -v176
	;; [unrolled: 1-line block ×3, first 2 shown]
	v_dual_fmac_f32 v179, v118, v153 :: v_dual_sub_f32 v4, v65, v140
	v_dual_sub_f32 v54, v66, v48 :: v_dual_sub_f32 v3, v0, v159
	v_dual_sub_f32 v48, v47, v49 :: v_dual_sub_f32 v63, v68, v51
	v_sub_f32_e32 v49, v162, v167
	v_dual_sub_f32 v51, v50, v52 :: v_dual_sub_f32 v64, v69, v171
	v_dual_sub_f32 v73, v70, v56 :: v_dual_sub_f32 v52, v169, v173
	v_sub_f32_e32 v53, v55, v57
	v_sub_f32_e32 v57, v58, v60
	v_dual_sub_f32 v117, v46, v1 :: v_dual_sub_f32 v60, v61, v2
	v_sub_f32_e32 v74, v71, v177
	v_sub_f32_e32 v56, v175, v179
	v_fma_f32 v118, v65, 2.0, -v4
	v_fma_f32 v119, v66, 2.0, -v54
	;; [unrolled: 1-line block ×13, first 2 shown]
	v_sub_f32_e32 v1, v54, v3
	v_sub_f32_e32 v3, v63, v49
	v_add_f32_e32 v47, v64, v53
	v_fma_f32 v140, v71, 2.0, -v74
	v_fma_f32 v153, v72, 2.0, -v75
	v_fma_f32 v71, v175, 2.0, -v56
	v_fma_f32 v72, v58, 2.0, -v57
	v_add_f32_e32 v0, v4, v48
	v_add_f32_e32 v2, v62, v51
	v_dual_sub_f32 v48, v73, v52 :: v_dual_add_f32 v49, v74, v57
	v_sub_f32_e32 v50, v75, v56
	v_dual_add_f32 v45, v76, v60 :: v_dual_sub_f32 v46, v117, v59
	v_dual_sub_f32 v51, v118, v65 :: v_dual_sub_f32 v52, v119, v66
	v_dual_sub_f32 v55, v135, v67 :: v_dual_sub_f32 v56, v136, v68
	v_dual_sub_f32 v59, v137, v69 :: v_dual_sub_f32 v60, v138, v70
	v_dual_sub_f32 v67, v154, v156 :: v_dual_sub_f32 v68, v155, v158
	v_fma_f32 v58, v63, 2.0, -v3
	v_fma_f32 v61, v64, 2.0, -v47
	v_dual_sub_f32 v63, v140, v71 :: v_dual_sub_f32 v64, v153, v72
	v_fma_f32 v53, v4, 2.0, -v0
	v_fma_f32 v54, v54, 2.0, -v1
	;; [unrolled: 1-line block ×18, first 2 shown]
	ds_store_2addr_b64 v141, v[51:52], v[0:1] offset0:8 offset1:12
	ds_store_2addr_b64 v142, v[55:56], v[2:3] offset0:8 offset1:12
	ds_store_2addr_b64 v143, v[59:60], v[47:48] offset0:8 offset1:12
	ds_store_2addr_b64 v144, v[63:64], v[49:50] offset0:8 offset1:12
	ds_store_2addr_b64 v145, v[67:68], v[45:46] offset0:8 offset1:12
	ds_store_2addr_b64 v141, v[71:72], v[53:54] offset1:4
	ds_store_2addr_b64 v142, v[73:74], v[57:58] offset1:4
	;; [unrolled: 1-line block ×5, first 2 shown]
	global_wb scope:SCOPE_SE
	s_wait_dscnt 0x0
	s_barrier_signal -1
	s_barrier_wait -1
	global_inv scope:SCOPE_SE
	ds_load_2addr_stride64_b64 v[0:3], v134 offset0:8 offset1:10
	ds_load_2addr_stride64_b64 v[45:48], v134 offset0:20 offset1:22
	;; [unrolled: 1-line block ×5, first 2 shown]
	ds_load_2addr_stride64_b64 v[61:64], v134 offset1:2
	ds_load_2addr_stride64_b64 v[65:68], v134 offset0:4 offset1:6
	ds_load_2addr_stride64_b64 v[69:72], v134 offset0:24 offset1:26
	;; [unrolled: 1-line block ×4, first 2 shown]
	v_mov_b32_e32 v164, v157
	global_wb scope:SCOPE_SE
	s_wait_dscnt 0x0
	s_barrier_signal -1
	s_barrier_wait -1
	global_inv scope:SCOPE_SE
	v_mul_f32_e32 v156, v121, v58
	v_mul_f32_e32 v4, v6, v3
	;; [unrolled: 1-line block ×3, first 2 shown]
	v_dual_mul_f32 v167, v8, v71 :: v_dual_mul_f32 v158, v6, v56
	v_dual_mul_f32 v170, v6, v76 :: v_dual_mul_f32 v171, v8, v50
	;; [unrolled: 1-line block ×3, first 2 shown]
	v_mul_f32_e32 v166, v8, v72
	s_delay_alu instid0(VALU_DEP_4) | instskip(SKIP_4) | instid1(VALU_DEP_4)
	v_fmac_f32_e32 v158, v5, v55
	v_fma_f32 v55, v7, v72, -v167
	v_dual_fmac_f32 v170, v5, v75 :: v_dual_fmac_f32 v171, v7, v49
	v_fmac_f32_e32 v172, v120, v137
	v_fmac_f32_e32 v166, v7, v71
	v_sub_f32_e32 v71, v68, v55
	v_mul_f32_e32 v141, v8, v46
	s_delay_alu instid0(VALU_DEP_4) | instskip(SKIP_4) | instid1(VALU_DEP_4)
	v_dual_sub_f32 v72, v0, v171 :: v_dual_sub_f32 v55, v170, v172
	v_mov_b32_e32 v162, v139
	v_lshlrev_b64_e32 v[139:140], 3, v[163:164]
	v_dual_mul_f32 v142, v8, v45 :: v_dual_mul_f32 v143, v121, v52
	v_mul_f32_e32 v144, v121, v51
	v_lshlrev_b64_e32 v[117:118], 3, v[161:162]
	v_mul_f32_e32 v145, v6, v54
	v_mul_f32_e32 v153, v6, v53
	;; [unrolled: 1-line block ×3, first 2 shown]
	v_dual_mul_f32 v157, v121, v57 :: v_dual_mul_f32 v160, v8, v70
	v_dual_mul_f32 v161, v8, v69 :: v_dual_mul_f32 v162, v121, v60
	;; [unrolled: 1-line block ×4, first 2 shown]
	v_mul_f32_e32 v169, v121, v135
	v_dual_mul_f32 v6, v6, v75 :: v_dual_mul_f32 v121, v121, v137
	v_fma_f32 v137, v0, 2.0, -v72
	v_mul_f32_e32 v154, v8, v48
	v_mul_f32_e32 v8, v8, v49
	v_fmac_f32_e32 v4, v5, v2
	v_fma_f32 v2, v5, v3, -v119
	v_fmac_f32_e32 v141, v7, v45
	v_fma_f32 v3, v7, v46, -v142
	;; [unrolled: 2-line block ×6, first 2 shown]
	v_fma_f32 v51, v5, v56, -v159
	v_fmac_f32_e32 v160, v7, v69
	v_fma_f32 v52, v7, v70, -v161
	v_fmac_f32_e32 v162, v120, v59
	;; [unrolled: 2-line block ×4, first 2 shown]
	v_fma_f32 v56, v120, v136, -v169
	v_fma_f32 v57, v5, v76, -v6
	;; [unrolled: 1-line block ×4, first 2 shown]
	v_sub_f32_e32 v8, v61, v141
	v_sub_f32_e32 v50, v62, v3
	v_sub_f32_e32 v3, v4, v143
	v_dual_sub_f32 v7, v2, v45 :: v_dual_sub_f32 v58, v63, v154
	v_sub_f32_e32 v59, v64, v47
	v_sub_f32_e32 v45, v145, v156
	;; [unrolled: 1-line block ×5, first 2 shown]
	v_dual_sub_f32 v48, v158, v162 :: v_dual_sub_f32 v49, v51, v53
	v_sub_f32_e32 v70, v67, v166
	v_sub_f32_e32 v52, v164, v168
	;; [unrolled: 1-line block ×5, first 2 shown]
	v_fma_f32 v74, v61, 2.0, -v8
	v_fma_f32 v75, v62, 2.0, -v50
	;; [unrolled: 1-line block ×8, first 2 shown]
	v_sub_f32_e32 v5, v59, v45
	v_fma_f32 v120, v65, 2.0, -v60
	v_fma_f32 v121, v66, 2.0, -v69
	;; [unrolled: 1-line block ×4, first 2 shown]
	v_add_f32_e32 v6, v60, v49
	v_fma_f32 v135, v67, 2.0, -v70
	v_fma_f32 v136, v68, 2.0, -v71
	;; [unrolled: 1-line block ×7, first 2 shown]
	v_add_f32_e32 v2, v8, v7
	v_sub_f32_e32 v3, v50, v3
	v_dual_add_f32 v4, v58, v47 :: v_dual_sub_f32 v7, v69, v48
	v_dual_add_f32 v45, v70, v53 :: v_dual_sub_f32 v46, v71, v52
	;; [unrolled: 1-line block ×3, first 2 shown]
	v_dual_sub_f32 v47, v74, v61 :: v_dual_sub_f32 v48, v75, v62
	v_dual_sub_f32 v51, v76, v63 :: v_dual_sub_f32 v52, v119, v64
	v_fma_f32 v54, v59, 2.0, -v5
	v_dual_sub_f32 v55, v120, v65 :: v_dual_sub_f32 v56, v121, v66
	v_fma_f32 v57, v60, 2.0, -v6
	v_dual_sub_f32 v59, v135, v67 :: v_dual_sub_f32 v60, v136, v68
	v_dual_sub_f32 v63, v137, v141 :: v_dual_sub_f32 v64, v138, v142
	v_fma_f32 v49, v8, 2.0, -v2
	v_fma_f32 v50, v50, 2.0, -v3
	;; [unrolled: 1-line block ×18, first 2 shown]
	ds_store_2addr_b64 v146, v[47:48], v[2:3] offset0:32 offset1:48
	ds_store_2addr_b64 v147, v[51:52], v[4:5] offset0:32 offset1:48
	;; [unrolled: 1-line block ×5, first 2 shown]
	ds_store_2addr_b64 v146, v[67:68], v[49:50] offset1:16
	ds_store_2addr_b64 v147, v[69:70], v[53:54] offset1:16
	;; [unrolled: 1-line block ×5, first 2 shown]
	v_add_co_u32 v0, vcc_lo, s0, v117
	global_wb scope:SCOPE_SE
	s_wait_dscnt 0x0
	s_barrier_signal -1
	s_barrier_wait -1
	global_inv scope:SCOPE_SE
	ds_load_2addr_stride64_b64 v[2:5], v134 offset0:4 offset1:6
	ds_load_2addr_stride64_b64 v[45:48], v134 offset0:8 offset1:10
	s_wait_alu 0xfffd
	v_add_co_ci_u32_e32 v1, vcc_lo, s1, v118, vcc_lo
	ds_load_2addr_stride64_b64 v[49:52], v134 offset0:12 offset1:14
	ds_load_2addr_stride64_b64 v[53:56], v134 offset0:16 offset1:18
	;; [unrolled: 1-line block ×5, first 2 shown]
	ds_load_2addr_stride64_b64 v[69:72], v134 offset1:2
	ds_load_2addr_stride64_b64 v[73:76], v134 offset0:32 offset1:34
	ds_load_2addr_stride64_b64 v[117:120], v134 offset0:36 offset1:38
	v_add_co_u32 v0, vcc_lo, v0, v139
	s_wait_alu 0xfffd
	v_add_co_ci_u32_e32 v1, vcc_lo, v1, v140, vcc_lo
	global_wb scope:SCOPE_SE
	s_wait_dscnt 0x0
	s_barrier_signal -1
	s_barrier_wait -1
	global_inv scope:SCOPE_SE
	v_mul_f32_e32 v149, v22, v5
	v_mul_f32_e32 v135, v18, v50
	v_mul_f32_e32 v153, v18, v52
	v_mul_f32_e32 v121, v22, v3
	v_dual_mul_f32 v136, v18, v49 :: v_dual_mul_f32 v147, v123, v118
	v_mul_f32_e32 v18, v18, v51
	v_mul_f32_e32 v157, v10, v68
	;; [unrolled: 1-line block ×3, first 2 shown]
	v_fmac_f32_e32 v135, v17, v49
	v_fmac_f32_e32 v147, v122, v117
	v_dual_mul_f32 v6, v22, v2 :: v_dual_fmac_f32 v149, v21, v4
	v_dual_fmac_f32 v153, v17, v51 :: v_dual_mul_f32 v22, v22, v4
	v_mul_f32_e32 v143, v10, v66
	v_mul_f32_e32 v144, v10, v65
	;; [unrolled: 1-line block ×3, first 2 shown]
	v_dual_mul_f32 v10, v10, v67 :: v_dual_fmac_f32 v121, v21, v2
	v_fmac_f32_e32 v157, v9, v67
	v_dual_fmac_f32 v159, v122, v119 :: v_dual_mul_f32 v158, v12, v76
	v_sub_f32_e32 v67, v135, v147
	v_fma_f32 v160, v21, v3, -v6
	v_add_f32_e32 v163, v149, v153
	s_delay_alu instid0(VALU_DEP_4)
	v_sub_f32_e32 v171, v157, v159
	v_fma_f32 v21, v21, v5, -v22
	v_fma_f32 v5, v17, v52, -v18
	v_mul_f32_e32 v150, v24, v48
	v_mul_f32_e32 v7, v24, v46
	;; [unrolled: 1-line block ×6, first 2 shown]
	v_fma_f32 v3, v17, v50, -v136
	v_mul_f32_e32 v140, v14, v57
	v_mul_f32_e32 v14, v14, v59
	v_fma_f32 v50, v122, v118, -v148
	v_mul_f32_e32 v8, v24, v45
	v_fmac_f32_e32 v150, v23, v47
	v_add_f32_e32 v172, v21, v5
	v_fmac_f32_e32 v158, v11, v75
	v_mul_f32_e32 v146, v12, v73
	v_mul_f32_e32 v12, v12, v75
	;; [unrolled: 1-line block ×4, first 2 shown]
	v_dual_mul_f32 v156, v16, v64 :: v_dual_add_f32 v169, v153, v159
	v_fmac_f32_e32 v7, v23, v45
	v_fmac_f32_e32 v139, v13, v57
	;; [unrolled: 1-line block ×4, first 2 shown]
	v_fma_f32 v49, v11, v74, -v146
	v_fmac_f32_e32 v155, v13, v59
	v_add_f32_e32 v75, v3, v50
	v_fma_f32 v2, v23, v46, -v8
	v_fma_f32 v8, v13, v58, -v140
	;; [unrolled: 1-line block ×7, first 2 shown]
	v_mul_f32_e32 v138, v20, v53
	s_delay_alu instid0(VALU_DEP_4)
	v_dual_mul_f32 v24, v24, v47 :: v_dual_add_f32 v173, v13, v9
	v_dual_mul_f32 v154, v20, v56 :: v_dual_sub_f32 v167, v153, v155
	v_dual_mul_f32 v20, v20, v55 :: v_dual_fmac_f32 v137, v19, v53
	v_fmac_f32_e32 v141, v15, v61
	v_fmac_f32_e32 v156, v15, v63
	v_dual_add_f32 v22, v7, v145 :: v_dual_add_f32 v177, v5, v11
	v_sub_f32_e32 v165, v5, v11
	v_sub_f32_e32 v166, v13, v9
	;; [unrolled: 1-line block ×4, first 2 shown]
	v_add_f32_e32 v13, v172, v13
	v_dual_mul_f32 v142, v16, v61 :: v_dual_sub_f32 v123, v158, v156
	v_fma_f32 v4, v23, v48, -v24
	v_dual_sub_f32 v51, v137, v141 :: v_dual_sub_f32 v58, v3, v50
	s_delay_alu instid0(VALU_DEP_3)
	v_fma_f32 v45, v15, v62, -v142
	v_add_f32_e32 v62, v135, v147
	v_mul_f32_e32 v16, v16, v63
	v_fma_f32 v17, v19, v56, -v20
	v_add_f32_e32 v140, v72, v4
	v_sub_f32_e32 v59, v8, v46
	v_add_f32_e32 v65, v160, v3
	v_fma_f32 v14, v15, v64, -v16
	v_add_f32_e32 v15, v137, v141
	v_dual_sub_f32 v16, v2, v49 :: v_dual_sub_f32 v73, v3, v8
	v_dual_sub_f32 v3, v8, v3 :: v_dual_sub_f32 v76, v46, v50
	v_dual_add_f32 v12, v69, v7 :: v_dual_sub_f32 v119, v4, v10
	v_sub_f32_e32 v120, v17, v14
	v_sub_f32_e32 v148, v4, v17
	v_dual_add_f32 v161, v4, v10 :: v_dual_sub_f32 v4, v17, v4
	v_dual_sub_f32 v170, v155, v153 :: v_dual_sub_f32 v153, v153, v159
	v_add_f32_e32 v142, v17, v14
	v_sub_f32_e32 v162, v14, v10
	v_dual_fmac_f32 v154, v19, v55 :: v_dual_add_f32 v17, v140, v17
	v_add_f32_e32 v117, v71, v150
	v_fma_f32 v6, v19, v54, -v138
	v_sub_f32_e32 v19, v7, v137
	v_sub_f32_e32 v23, v137, v7
	v_add_f32_e32 v47, v70, v2
	s_delay_alu instid0(VALU_DEP_4)
	v_dual_sub_f32 v7, v7, v145 :: v_dual_sub_f32 v52, v2, v6
	v_dual_sub_f32 v55, v45, v49 :: v_dual_add_f32 v66, v8, v46
	v_sub_f32_e32 v74, v50, v46
	v_sub_f32_e32 v168, v159, v157
	;; [unrolled: 1-line block ×4, first 2 shown]
	v_add_f32_e32 v48, v6, v45
	v_add_f32_e32 v8, v65, v8
	v_dual_add_f32 v3, v3, v76 :: v_dual_add_f32 v12, v12, v137
	v_fma_f32 v137, -0.5, v15, v69
	v_add_f32_e32 v54, v2, v49
	v_sub_f32_e32 v2, v6, v2
	v_dual_add_f32 v56, v121, v135 :: v_dual_add_f32 v65, v4, v162
	v_sub_f32_e32 v122, v150, v154
	v_sub_f32_e32 v20, v145, v141
	;; [unrolled: 1-line block ×5, first 2 shown]
	s_delay_alu instid0(VALU_DEP_4)
	v_dual_add_f32 v2, v2, v55 :: v_dual_add_f32 v15, v19, v20
	v_fma_f32 v19, -0.5, v22, v69
	v_add_f32_e32 v55, v73, v74
	v_add_f32_e32 v69, v167, v168
	;; [unrolled: 1-line block ×3, first 2 shown]
	v_fma_f32 v23, -0.5, v54, v70
	v_fma_f32 v54, -0.5, v66, v160
	v_dual_fmac_f32 v160, -0.5, v75 :: v_dual_add_f32 v73, v175, v176
	v_fma_f32 v24, -0.5, v48, v70
	v_fmamk_f32 v75, v16, 0xbf737871, v137
	v_dual_fmac_f32 v137, 0x3f737871, v16 :: v_dual_sub_f32 v18, v6, v45
	v_dual_add_f32 v6, v47, v6 :: v_dual_add_f32 v47, v56, v139
	v_dual_sub_f32 v60, v135, v139 :: v_dual_add_f32 v135, v150, v158
	v_dual_add_f32 v57, v139, v143 :: v_dual_sub_f32 v136, v154, v150
	v_sub_f32_e32 v178, v9, v11
	v_add_f32_e32 v22, v52, v53
	v_add_f32_e32 v56, v117, v154
	v_fmamk_f32 v76, v18, 0x3f737871, v19
	v_fmac_f32_e32 v19, 0xbf737871, v18
	v_fmamk_f32 v117, v7, 0x3f737871, v24
	v_add_f32_e32 v164, v155, v157
	v_add_f32_e32 v9, v13, v9
	v_add_f32_e32 v52, v60, v61
	v_fma_f32 v61, -0.5, v135, v71
	v_sub_f32_e32 v64, v143, v147
	v_fma_f32 v48, -0.5, v57, v121
	v_fmac_f32_e32 v117, 0x3f167918, v51
	v_fma_f32 v66, -0.5, v164, v149
	v_fmamk_f32 v135, v120, 0x3f737871, v61
	v_dual_fmac_f32 v149, -0.5, v169 :: v_dual_add_f32 v118, v154, v156
	v_add_f32_e32 v53, v63, v64
	v_fmac_f32_e32 v137, 0x3f167918, v18
	s_delay_alu instid0(VALU_DEP_4) | instskip(NEXT) | instid1(VALU_DEP_4)
	v_dual_fmac_f32 v135, 0xbf167918, v119 :: v_dual_add_f32 v6, v6, v45
	v_fma_f32 v60, -0.5, v118, v71
	v_fma_f32 v71, -0.5, v173, v21
	v_fmamk_f32 v118, v51, 0xbf737871, v23
	v_fmac_f32_e32 v23, 0x3f737871, v51
	v_fmamk_f32 v45, v58, 0xbf737871, v48
	v_fmac_f32_e32 v121, -0.5, v62
	v_dual_sub_f32 v144, v150, v158 :: v_dual_fmamk_f32 v13, v153, 0x3f737871, v71
	v_fmac_f32_e32 v71, 0xbf737871, v153
	v_fma_f32 v63, -0.5, v142, v72
	v_dual_fmac_f32 v23, 0xbf167918, v7 :: v_dual_sub_f32 v138, v156, v158
	v_fmac_f32_e32 v45, 0xbf167918, v59
	v_add_f32_e32 v9, v9, v11
	v_dual_add_f32 v74, v5, v178 :: v_dual_add_f32 v5, v12, v141
	v_sub_f32_e32 v150, v10, v14
	v_add_f32_e32 v12, v47, v143
	v_fmamk_f32 v47, v59, 0x3f737871, v121
	v_dual_fmac_f32 v121, 0xbf737871, v59 :: v_dual_sub_f32 v174, v155, v157
	v_fmac_f32_e32 v21, -0.5, v177
	v_add_f32_e32 v5, v5, v145
	v_fmac_f32_e32 v75, 0xbf167918, v18
	s_delay_alu instid0(VALU_DEP_4)
	v_dual_fmac_f32 v121, 0x3f167918, v58 :: v_dual_sub_f32 v146, v154, v156
	v_add_f32_e32 v62, v136, v138
	v_dual_add_f32 v64, v148, v150 :: v_dual_fmac_f32 v137, 0x3e9e377a, v15
	v_fmamk_f32 v136, v144, 0x3f737871, v63
	v_dual_fmac_f32 v63, 0xbf737871, v144 :: v_dual_sub_f32 v68, v139, v143
	v_fmac_f32_e32 v61, 0xbf737871, v120
	v_fmamk_f32 v139, v166, 0x3f737871, v149
	v_fmac_f32_e32 v149, 0xbf737871, v166
	v_fmac_f32_e32 v47, 0xbf167918, v58
	;; [unrolled: 1-line block ×3, first 2 shown]
	v_dual_add_f32 v8, v8, v46 :: v_dual_fmac_f32 v121, 0x3e9e377a, v53
	s_delay_alu instid0(VALU_DEP_4)
	v_dual_fmac_f32 v149, 0x3f167918, v165 :: v_dual_add_f32 v70, v170, v171
	v_fmac_f32_e32 v23, 0x3e9e377a, v2
	v_fmamk_f32 v140, v174, 0xbf737871, v21
	v_fmac_f32_e32 v21, 0x3f737871, v174
	v_fmac_f32_e32 v63, 0xbf167918, v146
	v_add_f32_e32 v14, v17, v14
	v_fmamk_f32 v17, v165, 0xbf737871, v66
	v_add_f32_e32 v57, v122, v123
	v_fmamk_f32 v123, v119, 0xbf737871, v60
	v_fmac_f32_e32 v63, 0x3e9e377a, v64
	v_fmac_f32_e32 v139, 0xbf167918, v165
	v_dual_fmac_f32 v17, 0xbf167918, v166 :: v_dual_add_f32 v4, v163, v155
	v_fmac_f32_e32 v117, 0x3e9e377a, v22
	v_fmac_f32_e32 v71, 0xbf167918, v174
	v_fmamk_f32 v122, v68, 0xbf737871, v160
	v_fmac_f32_e32 v160, 0x3f737871, v68
	v_dual_add_f32 v8, v8, v50 :: v_dual_fmac_f32 v17, 0x3e9e377a, v69
	v_fmac_f32_e32 v123, 0xbf167918, v120
	s_delay_alu instid0(VALU_DEP_4) | instskip(SKIP_4) | instid1(VALU_DEP_4)
	v_fmac_f32_e32 v122, 0x3f167918, v67
	v_dual_fmac_f32 v61, 0x3f167918, v119 :: v_dual_add_f32 v10, v14, v10
	v_fmac_f32_e32 v71, 0x3e9e377a, v73
	v_fmamk_f32 v46, v67, 0x3f737871, v54
	v_dual_fmac_f32 v75, 0x3e9e377a, v15 :: v_dual_add_f32 v4, v4, v157
	v_fmac_f32_e32 v61, 0x3e9e377a, v62
	v_fmac_f32_e32 v47, 0x3e9e377a, v53
	v_dual_fmac_f32 v135, 0x3e9e377a, v62 :: v_dual_add_f32 v6, v6, v49
	v_fmac_f32_e32 v139, 0x3e9e377a, v70
	v_fmac_f32_e32 v24, 0xbf737871, v7
	;; [unrolled: 1-line block ×3, first 2 shown]
	v_add_f32_e32 v7, v12, v147
	v_fmac_f32_e32 v160, 0xbf167918, v67
	v_fmac_f32_e32 v48, 0x3f737871, v58
	v_dual_add_f32 v14, v4, v159 :: v_dual_fmac_f32 v149, 0x3e9e377a, v70
	v_dual_fmac_f32 v21, 0xbf167918, v153 :: v_dual_add_f32 v56, v56, v156
	v_dual_fmac_f32 v123, 0x3e9e377a, v57 :: v_dual_fmac_f32 v118, 0x3e9e377a, v2
	v_fmac_f32_e32 v122, 0x3e9e377a, v3
	v_fmac_f32_e32 v160, 0x3e9e377a, v3
	v_add_f32_e32 v2, v5, v7
	v_dual_sub_f32 v4, v5, v7 :: v_dual_add_f32 v7, v10, v9
	v_dual_sub_f32 v9, v10, v9 :: v_dual_fmac_f32 v46, 0x3f167918, v68
	v_fmac_f32_e32 v45, 0x3e9e377a, v52
	v_fmac_f32_e32 v21, 0x3e9e377a, v74
	v_mul_f32_e32 v50, 0x3e9e377a, v122
	v_dual_add_f32 v12, v56, v158 :: v_dual_fmac_f32 v13, 0x3e9e377a, v73
	v_dual_fmac_f32 v46, 0x3e9e377a, v55 :: v_dual_add_f32 v3, v6, v8
	v_fmac_f32_e32 v24, 0xbf167918, v51
	v_mul_f32_e32 v51, 0xbe9e377a, v160
	v_mul_f32_e32 v58, 0xbf737871, v21
	v_fmac_f32_e32 v50, 0x3f737871, v47
	v_fmac_f32_e32 v54, 0xbf737871, v67
	v_mul_f32_e32 v18, 0xbf167918, v46
	v_mul_f32_e32 v46, 0x3f4f1bbd, v46
	v_fmac_f32_e32 v51, 0x3f737871, v121
	v_fmac_f32_e32 v58, 0xbe9e377a, v149
	;; [unrolled: 1-line block ×4, first 2 shown]
	s_delay_alu instid0(VALU_DEP_4) | instskip(SKIP_1) | instid1(VALU_DEP_4)
	v_dual_fmac_f32 v46, 0x3f167918, v45 :: v_dual_add_f32 v15, v23, v51
	v_dual_sub_f32 v23, v23, v51 :: v_dual_fmac_f32 v140, 0x3f167918, v153
	v_dual_add_f32 v51, v61, v58 :: v_dual_fmac_f32 v54, 0x3e9e377a, v55
	v_fmac_f32_e32 v19, 0x3f167918, v16
	v_mul_f32_e32 v55, 0xbf167918, v13
	s_delay_alu instid0(VALU_DEP_4)
	v_fmac_f32_e32 v140, 0x3e9e377a, v74
	v_fmac_f32_e32 v24, 0x3e9e377a, v22
	v_mul_f32_e32 v22, 0xbf737871, v160
	v_mul_f32_e32 v49, 0xbf167918, v54
	;; [unrolled: 1-line block ×3, first 2 shown]
	v_dual_add_f32 v11, v117, v46 :: v_dual_fmac_f32 v76, 0xbf167918, v16
	v_dual_sub_f32 v21, v118, v50 :: v_dual_fmac_f32 v48, 0x3e9e377a, v52
	v_dual_fmac_f32 v72, -0.5, v161 :: v_dual_fmac_f32 v19, 0x3e9e377a, v20
	v_dual_fmac_f32 v66, 0x3f737871, v165 :: v_dual_sub_f32 v5, v6, v8
	s_delay_alu instid0(VALU_DEP_3)
	v_dual_add_f32 v6, v12, v14 :: v_dual_fmac_f32 v49, 0xbf4f1bbd, v48
	v_fmac_f32_e32 v22, 0xbe9e377a, v121
	v_dual_fmac_f32 v60, 0x3f737871, v119 :: v_dual_fmac_f32 v67, 0x3f737871, v149
	v_dual_sub_f32 v8, v12, v14 :: v_dual_fmac_f32 v55, 0x3f4f1bbd, v17
	v_mul_f32_e32 v52, 0xbf4f1bbd, v54
	v_fmac_f32_e32 v18, 0x3f4f1bbd, v45
	v_add_f32_e32 v14, v19, v22
	v_dual_sub_f32 v22, v19, v22 :: v_dual_sub_f32 v45, v137, v49
	v_fmac_f32_e32 v136, 0x3f167918, v146
	v_sub_f32_e32 v19, v117, v46
	v_fmac_f32_e32 v66, 0x3f167918, v166
	v_fmac_f32_e32 v60, 0x3f167918, v120
	;; [unrolled: 1-line block ×4, first 2 shown]
	v_mul_f32_e32 v20, 0xbf737871, v122
	v_fmac_f32_e32 v66, 0x3e9e377a, v69
	v_mul_f32_e32 v62, 0xbf167918, v71
	v_mul_f32_e32 v64, 0x3f4f1bbd, v13
	v_fmac_f32_e32 v52, 0x3f167918, v48
	v_fmamk_f32 v138, v146, 0xbf737871, v72
	v_fmac_f32_e32 v72, 0x3f737871, v146
	v_fmac_f32_e32 v20, 0x3e9e377a, v47
	;; [unrolled: 1-line block ×3, first 2 shown]
	v_dual_fmac_f32 v64, 0x3f167918, v17 :: v_dual_add_f32 v17, v24, v52
	v_dual_fmac_f32 v138, 0x3f167918, v144 :: v_dual_sub_f32 v59, v61, v58
	v_add_f32_e32 v47, v123, v55
	v_dual_sub_f32 v55, v123, v55 :: v_dual_fmac_f32 v60, 0x3e9e377a, v57
	v_fmac_f32_e32 v72, 0xbf167918, v144
	s_delay_alu instid0(VALU_DEP_4) | instskip(SKIP_1) | instid1(VALU_DEP_4)
	v_fmac_f32_e32 v138, 0x3e9e377a, v65
	v_mul_f32_e32 v56, 0xbf737871, v140
	v_dual_mul_f32 v68, 0xbf4f1bbd, v71 :: v_dual_sub_f32 v61, v60, v62
	s_delay_alu instid0(VALU_DEP_4) | instskip(NEXT) | instid1(VALU_DEP_3)
	v_dual_fmac_f32 v72, 0x3e9e377a, v65 :: v_dual_mul_f32 v65, 0x3e9e377a, v140
	v_fmac_f32_e32 v56, 0x3e9e377a, v139
	s_delay_alu instid0(VALU_DEP_3) | instskip(SKIP_1) | instid1(VALU_DEP_4)
	v_fmac_f32_e32 v68, 0x3f167918, v66
	v_add_f32_e32 v10, v75, v18
	v_dual_add_f32 v12, v76, v20 :: v_dual_fmac_f32 v65, 0x3f737871, v139
	v_dual_add_f32 v13, v118, v50 :: v_dual_add_f32 v16, v137, v49
	v_sub_f32_e32 v18, v75, v18
	v_sub_f32_e32 v20, v76, v20
	;; [unrolled: 1-line block ×3, first 2 shown]
	v_add_f32_e32 v49, v135, v56
	v_add_f32_e32 v48, v136, v64
	;; [unrolled: 1-line block ×4, first 2 shown]
	v_dual_add_f32 v53, v60, v62 :: v_dual_add_f32 v54, v63, v68
	v_sub_f32_e32 v57, v135, v56
	v_sub_f32_e32 v56, v136, v64
	;; [unrolled: 1-line block ×5, first 2 shown]
	ds_store_2addr_stride64_b64 v152, v[2:3], v[10:11] offset1:1
	ds_store_2addr_stride64_b64 v152, v[12:13], v[14:15] offset0:2 offset1:3
	ds_store_2addr_stride64_b64 v152, v[16:17], v[4:5] offset0:4 offset1:5
	;; [unrolled: 1-line block ×4, first 2 shown]
	ds_store_2addr_stride64_b64 v151, v[6:7], v[47:48] offset1:1
	ds_store_2addr_stride64_b64 v151, v[49:50], v[51:52] offset0:2 offset1:3
	ds_store_2addr_stride64_b64 v151, v[53:54], v[8:9] offset0:4 offset1:5
	;; [unrolled: 1-line block ×4, first 2 shown]
	global_wb scope:SCOPE_SE
	s_wait_dscnt 0x0
	s_barrier_signal -1
	s_barrier_wait -1
	global_inv scope:SCOPE_SE
	ds_load_2addr_stride64_b64 v[8:11], v134 offset0:8 offset1:10
	ds_load_2addr_stride64_b64 v[12:15], v134 offset0:20 offset1:22
	;; [unrolled: 1-line block ×6, first 2 shown]
	ds_load_2addr_stride64_b64 v[53:56], v134 offset1:2
	ds_load_2addr_stride64_b64 v[57:60], v134 offset0:4 offset1:6
	ds_load_2addr_stride64_b64 v[61:64], v134 offset0:16 offset1:18
	;; [unrolled: 1-line block ×3, first 2 shown]
	s_wait_alu 0xfffe
	v_add_co_u32 v2, vcc_lo, v0, s6
	s_wait_alu 0xfffd
	v_add_co_ci_u32_e32 v3, vcc_lo, s7, v1, vcc_lo
	s_delay_alu instid0(VALU_DEP_2) | instskip(SKIP_1) | instid1(VALU_DEP_2)
	v_add_co_u32 v4, vcc_lo, v2, s6
	s_wait_alu 0xfffd
	v_add_co_ci_u32_e32 v5, vcc_lo, s7, v3, vcc_lo
	s_delay_alu instid0(VALU_DEP_2) | instskip(SKIP_1) | instid1(VALU_DEP_2)
	v_add_co_u32 v6, vcc_lo, v4, s6
	s_wait_alu 0xfffd
	v_add_co_ci_u32_e32 v7, vcc_lo, s7, v5, vcc_lo
	s_wait_dscnt 0x9
	v_mul_f32_e32 v24, v26, v11
	s_wait_dscnt 0x8
	v_dual_mul_f32 v26, v26, v10 :: v_dual_mul_f32 v69, v28, v13
	v_mul_f32_e32 v28, v28, v12
	s_wait_dscnt 0x7
	v_mul_f32_e32 v70, v125, v19
	s_wait_dscnt 0x6
	v_dual_mul_f32 v71, v125, v18 :: v_dual_mul_f32 v72, v30, v21
	v_dual_mul_f32 v30, v30, v20 :: v_dual_mul_f32 v73, v32, v15
	v_mul_f32_e32 v32, v32, v14
	s_wait_dscnt 0x5
	v_mul_f32_e32 v74, v127, v46
	v_dual_mul_f32 v75, v127, v45 :: v_dual_mul_f32 v76, v34, v23
	v_mul_f32_e32 v34, v34, v22
	s_wait_dscnt 0x4
	v_mul_f32_e32 v117, v36, v50
	v_mul_f32_e32 v36, v36, v49
	;; [unrolled: 1-line block ×3, first 2 shown]
	s_wait_dscnt 0x1
	v_dual_mul_f32 v119, v129, v47 :: v_dual_mul_f32 v120, v38, v62
	v_dual_mul_f32 v38, v38, v61 :: v_dual_mul_f32 v121, v40, v52
	v_mul_f32_e32 v40, v40, v51
	s_wait_dscnt 0x0
	v_mul_f32_e32 v122, v131, v66
	v_mul_f32_e32 v123, v131, v65
	;; [unrolled: 1-line block ×3, first 2 shown]
	v_dual_mul_f32 v42, v42, v63 :: v_dual_mul_f32 v127, v44, v17
	v_mul_f32_e32 v44, v44, v16
	v_mul_f32_e32 v129, v133, v68
	;; [unrolled: 1-line block ×3, first 2 shown]
	v_fmac_f32_e32 v24, v25, v10
	v_fma_f32 v10, v25, v11, -v26
	v_fmac_f32_e32 v69, v27, v12
	v_fma_f32 v11, v27, v13, -v28
	;; [unrolled: 2-line block ×15, first 2 shown]
	v_dual_sub_f32 v26, v53, v69 :: v_dual_sub_f32 v27, v54, v11
	v_dual_sub_f32 v11, v24, v70 :: v_dual_sub_f32 v12, v10, v12
	;; [unrolled: 1-line block ×9, first 2 shown]
	v_sub_f32_e32 v34, v125, v129
	v_sub_f32_e32 v35, v25, v17
	v_fma_f32 v38, v53, 2.0, -v26
	v_fma_f32 v39, v54, 2.0, -v27
	;; [unrolled: 1-line block ×4, first 2 shown]
	v_dual_add_f32 v10, v26, v12 :: v_dual_sub_f32 v11, v27, v11
	v_fma_f32 v41, v55, 2.0, -v28
	v_fma_f32 v42, v56, 2.0, -v29
	v_fma_f32 v43, v72, 2.0, -v14
	v_fma_f32 v44, v13, 2.0, -v15
	v_fma_f32 v45, v57, 2.0, -v30
	v_fma_f32 v46, v58, 2.0, -v31
	v_fma_f32 v47, v76, 2.0, -v19
	v_fma_f32 v48, v18, 2.0, -v20
	v_dual_add_f32 v12, v28, v15 :: v_dual_sub_f32 v13, v29, v14
	v_dual_add_f32 v14, v30, v20 :: v_dual_sub_f32 v15, v31, v19
	v_fma_f32 v49, v59, 2.0, -v32
	v_fma_f32 v50, v60, 2.0, -v33
	;; [unrolled: 1-line block ×8, first 2 shown]
	v_dual_add_f32 v16, v32, v23 :: v_dual_sub_f32 v17, v33, v22
	v_dual_add_f32 v8, v36, v35 :: v_dual_sub_f32 v9, v37, v34
	v_sub_f32_e32 v18, v38, v24
	v_sub_f32_e32 v19, v39, v40
	v_fma_f32 v20, v26, 2.0, -v10
	v_fma_f32 v21, v27, 2.0, -v11
	v_dual_sub_f32 v22, v41, v43 :: v_dual_sub_f32 v23, v42, v44
	v_dual_sub_f32 v26, v45, v47 :: v_dual_sub_f32 v27, v46, v48
	v_fma_f32 v24, v28, 2.0, -v12
	v_fma_f32 v25, v29, 2.0, -v13
	;; [unrolled: 1-line block ×4, first 2 shown]
	v_dual_sub_f32 v30, v49, v51 :: v_dual_sub_f32 v31, v50, v52
	v_dual_sub_f32 v34, v53, v55 :: v_dual_sub_f32 v35, v54, v56
	v_fma_f32 v32, v32, 2.0, -v16
	v_fma_f32 v33, v33, 2.0, -v17
	;; [unrolled: 1-line block ×4, first 2 shown]
	ds_store_2addr_stride64_b64 v134, v[12:13], v[14:15] offset0:32 offset1:34
	ds_store_2addr_stride64_b64 v134, v[16:17], v[8:9] offset0:36 offset1:38
	v_fma_f32 v8, v38, 2.0, -v18
	v_fma_f32 v9, v39, 2.0, -v19
	;; [unrolled: 1-line block ×10, first 2 shown]
	ds_store_2addr_stride64_b64 v134, v[18:19], v[22:23] offset0:20 offset1:22
	ds_store_2addr_stride64_b64 v134, v[24:25], v[28:29] offset0:12 offset1:14
	;; [unrolled: 1-line block ×5, first 2 shown]
	ds_store_2addr_stride64_b64 v134, v[8:9], v[12:13] offset1:2
	ds_store_2addr_stride64_b64 v134, v[14:15], v[16:17] offset0:4 offset1:6
	ds_store_2addr_stride64_b64 v134, v[38:39], v[20:21] offset0:8 offset1:10
	global_wb scope:SCOPE_SE
	s_wait_dscnt 0x0
	s_barrier_signal -1
	s_barrier_wait -1
	global_inv scope:SCOPE_SE
	ds_load_2addr_stride64_b64 v[8:11], v134 offset1:2
	ds_load_2addr_stride64_b64 v[12:15], v134 offset0:8 offset1:10
	ds_load_2addr_stride64_b64 v[16:19], v134 offset0:20 offset1:22
	;; [unrolled: 1-line block ×9, first 2 shown]
	v_add_co_u32 v48, vcc_lo, v6, s2
	s_wait_alu 0xfffd
	v_add_co_ci_u32_e32 v49, vcc_lo, s3, v7, vcc_lo
	s_delay_alu instid0(VALU_DEP_2) | instskip(SKIP_1) | instid1(VALU_DEP_2)
	v_add_co_u32 v50, vcc_lo, v48, s6
	s_wait_alu 0xfffd
	v_add_co_ci_u32_e32 v51, vcc_lo, s7, v49, vcc_lo
	s_delay_alu instid0(VALU_DEP_2) | instskip(SKIP_1) | instid1(VALU_DEP_2)
	v_add_co_u32 v52, vcc_lo, v50, s6
	s_wait_alu 0xfffd
	v_add_co_ci_u32_e32 v53, vcc_lo, s7, v51, vcc_lo
	s_wait_dscnt 0x9
	v_mul_f32_e32 v54, v90, v9
	v_mul_f32_e32 v55, v90, v8
	s_wait_dscnt 0x2
	v_mul_f32_e32 v75, v98, v36
	v_dual_mul_f32 v56, v110, v15 :: v_dual_mul_f32 v59, v112, v16
	v_mul_f32_e32 v64, v82, v25
	v_dual_mul_f32 v57, v110, v14 :: v_dual_mul_f32 v58, v112, v17
	;; [unrolled: 2-line block ×3, first 2 shown]
	v_mul_f32_e32 v63, v88, v10
	v_mul_f32_e32 v65, v82, v24
	;; [unrolled: 1-line block ×4, first 2 shown]
	v_fmac_f32_e32 v54, v89, v8
	v_fma_f32 v55, v89, v9, -v55
	v_fmac_f32_e32 v56, v109, v14
	v_fma_f32 v59, v111, v17, -v59
	v_fmac_f32_e32 v64, v81, v24
	v_mul_f32_e32 v66, v80, v19
	v_mul_f32_e32 v67, v80, v18
	v_fma_f32 v57, v109, v15, -v57
	v_mul_f32_e32 v68, v106, v29
	v_mul_f32_e32 v69, v106, v28
	v_fmac_f32_e32 v58, v111, v16
	v_mul_f32_e32 v72, v84, v27
	v_mul_f32_e32 v73, v84, v26
	v_fmac_f32_e32 v60, v77, v22
	v_fma_f32 v61, v77, v23, -v61
	v_mul_f32_e32 v76, v102, v31
	v_mul_f32_e32 v78, v102, v30
	v_fmac_f32_e32 v62, v87, v10
	v_fma_f32 v63, v87, v11, -v63
	v_mul_f32_e32 v74, v98, v37
	v_fma_f32 v65, v81, v25, -v65
	v_fmac_f32_e32 v70, v85, v32
	v_fma_f32 v71, v85, v33, -v71
	v_cvt_f64_f32_e32 v[8:9], v54
	v_cvt_f64_f32_e32 v[10:11], v55
	;; [unrolled: 1-line block ×5, first 2 shown]
	v_fmac_f32_e32 v66, v79, v18
	v_fma_f32 v67, v79, v19, -v67
	v_cvt_f64_f32_e32 v[16:17], v57
	v_fmac_f32_e32 v68, v105, v28
	v_fma_f32 v69, v105, v29, -v69
	v_cvt_f64_f32_e32 v[18:19], v58
	;; [unrolled: 3-line block ×3, first 2 shown]
	v_cvt_f64_f32_e32 v[26:27], v61
	v_fmac_f32_e32 v76, v101, v30
	v_fma_f32 v77, v101, v31, -v78
	v_cvt_f64_f32_e32 v[28:29], v62
	v_cvt_f64_f32_e32 v[30:31], v63
	v_fmac_f32_e32 v74, v97, v36
	v_fma_f32 v75, v97, v37, -v75
	v_cvt_f64_f32_e32 v[36:37], v65
	v_cvt_f64_f32_e32 v[54:55], v66
	v_cvt_f64_f32_e32 v[56:57], v67
	v_cvt_f64_f32_e32 v[58:59], v68
	v_cvt_f64_f32_e32 v[60:61], v69
	v_cvt_f64_f32_e32 v[62:63], v70
	v_cvt_f64_f32_e32 v[64:65], v71
	v_mul_f32_e32 v88, v96, v39
	v_mul_f32_e32 v90, v96, v38
	;; [unrolled: 1-line block ×8, first 2 shown]
	v_fmac_f32_e32 v96, v103, v12
	v_fma_f32 v81, v103, v13, -v98
	v_fmac_f32_e32 v104, v113, v20
	v_fma_f32 v89, v113, v21, -v106
	v_cvt_f64_f32_e32 v[12:13], v72
	v_cvt_f64_f32_e32 v[20:21], v73
	v_fmac_f32_e32 v80, v91, v34
	v_fma_f32 v66, v91, v35, -v82
	v_fmac_f32_e32 v88, v95, v38
	v_fma_f32 v78, v95, v39, -v90
	v_cvt_f64_f32_e32 v[34:35], v74
	v_cvt_f64_f32_e32 v[38:39], v75
	v_mul_f64_e32 v[8:9], s[8:9], v[8:9]
	v_mul_f64_e32 v[10:11], s[8:9], v[10:11]
	;; [unrolled: 1-line block ×5, first 2 shown]
	s_wait_dscnt 0x1
	v_mul_f32_e32 v84, v94, v41
	v_mul_f32_e32 v86, v94, v40
	s_wait_dscnt 0x0
	v_mul_f32_e32 v92, v100, v45
	v_mul_f32_e32 v94, v100, v44
	;; [unrolled: 1-line block ×4, first 2 shown]
	v_mul_f64_e32 v[16:17], s[8:9], v[16:17]
	v_mul_f32_e32 v108, v116, v47
	v_mul_f32_e32 v110, v116, v46
	v_mul_f64_e32 v[18:19], s[8:9], v[18:19]
	v_mul_f64_e32 v[24:25], s[8:9], v[24:25]
	v_mul_f64_e32 v[26:27], s[8:9], v[26:27]
	v_mul_f64_e32 v[28:29], s[8:9], v[28:29]
	v_mul_f64_e32 v[30:31], s[8:9], v[30:31]
	v_mul_f64_e32 v[36:37], s[8:9], v[36:37]
	v_fmac_f32_e32 v84, v93, v40
	v_fma_f32 v68, v93, v41, -v86
	v_fmac_f32_e32 v100, v107, v42
	v_fma_f32 v85, v107, v43, -v102
	v_mul_f64_e32 v[40:41], s[8:9], v[54:55]
	v_mul_f64_e32 v[42:43], s[8:9], v[56:57]
	v_fmac_f32_e32 v92, v99, v44
	v_fma_f32 v79, v99, v45, -v94
	v_fmac_f32_e32 v108, v115, v46
	v_fma_f32 v93, v115, v47, -v110
	v_mul_f64_e32 v[44:45], s[8:9], v[58:59]
	v_mul_f64_e32 v[46:47], s[8:9], v[60:61]
	v_mul_f64_e32 v[54:55], s[8:9], v[62:63]
	v_mul_f64_e32 v[56:57], s[8:9], v[64:65]
	v_cvt_f64_f32_e32 v[58:59], v76
	v_cvt_f64_f32_e32 v[60:61], v77
	;; [unrolled: 1-line block ×18, first 2 shown]
	v_mul_f64_e32 v[12:13], s[8:9], v[12:13]
	v_mul_f64_e32 v[20:21], s[8:9], v[20:21]
	v_cvt_f32_f64_e32 v8, v[8:9]
	v_cvt_f32_f64_e32 v9, v[10:11]
	;; [unrolled: 1-line block ×5, first 2 shown]
	v_mul_f64_e32 v[32:33], s[8:9], v[34:35]
	v_mul_f64_e32 v[34:35], s[8:9], v[38:39]
	v_cvt_f32_f64_e32 v11, v[16:17]
	v_cvt_f32_f64_e32 v14, v[18:19]
	;; [unrolled: 1-line block ×13, first 2 shown]
	v_mul_f64_e32 v[38:39], s[8:9], v[58:59]
	v_mul_f64_e32 v[40:41], s[8:9], v[60:61]
	;; [unrolled: 1-line block ×18, first 2 shown]
	v_add_co_u32 v30, vcc_lo, v52, s6
	s_wait_alu 0xfffd
	v_add_co_ci_u32_e32 v31, vcc_lo, s7, v53, vcc_lo
	v_cvt_f32_f64_e32 v12, v[12:13]
	v_cvt_f32_f64_e32 v13, v[20:21]
	v_add_co_u32 v36, vcc_lo, v30, s2
	s_wait_alu 0xfffd
	v_add_co_ci_u32_e32 v37, vcc_lo, s3, v31, vcc_lo
	s_clause 0x4
	global_store_b64 v[0:1], v[8:9], off
	global_store_b64 v[2:3], v[10:11], off
	global_store_b64 v[4:5], v[14:15], off
	global_store_b64 v[6:7], v[16:17], off
	global_store_b64 v[48:49], v[18:19], off
	global_store_b64 v[50:51], v[22:23], off
	global_store_b64 v[52:53], v[24:25], off
	global_store_b64 v[30:31], v[26:27], off
	global_store_b64 v[36:37], v[28:29], off
	v_cvt_f32_f64_e32 v2, v[32:33]
	v_cvt_f32_f64_e32 v3, v[34:35]
	v_add_co_u32 v0, vcc_lo, v36, s6
	s_wait_alu 0xfffd
	v_add_co_ci_u32_e32 v1, vcc_lo, s7, v37, vcc_lo
	s_delay_alu instid0(VALU_DEP_2)
	v_add_co_u32 v4, vcc_lo, v0, s6
	v_cvt_f32_f64_e32 v6, v[38:39]
	v_cvt_f32_f64_e32 v7, v[40:41]
	s_wait_alu 0xfffd
	v_add_co_ci_u32_e32 v5, vcc_lo, s7, v1, vcc_lo
	v_add_co_u32 v8, vcc_lo, v4, s6
	v_cvt_f32_f64_e32 v10, v[42:43]
	s_wait_alu 0xfffd
	s_delay_alu instid0(VALU_DEP_3)
	v_add_co_ci_u32_e32 v9, vcc_lo, s7, v5, vcc_lo
	v_cvt_f32_f64_e32 v11, v[44:45]
	v_cvt_f32_f64_e32 v14, v[46:47]
	;; [unrolled: 1-line block ×5, first 2 shown]
	v_add_co_u32 v16, vcc_lo, v8, s2
	v_cvt_f32_f64_e32 v20, v[60:61]
	v_cvt_f32_f64_e32 v21, v[62:63]
	;; [unrolled: 1-line block ×4, first 2 shown]
	s_wait_alu 0xfffd
	v_add_co_ci_u32_e32 v17, vcc_lo, s3, v9, vcc_lo
	v_cvt_f32_f64_e32 v24, v[68:69]
	v_cvt_f32_f64_e32 v25, v[70:71]
	;; [unrolled: 1-line block ×6, first 2 shown]
	v_add_co_u32 v30, vcc_lo, v16, s6
	s_wait_alu 0xfffd
	v_add_co_ci_u32_e32 v31, vcc_lo, s7, v17, vcc_lo
	global_store_b64 v[0:1], v[12:13], off
	v_add_co_u32 v0, vcc_lo, v30, s6
	s_wait_alu 0xfffd
	v_add_co_ci_u32_e32 v1, vcc_lo, s7, v31, vcc_lo
	global_store_b64 v[4:5], v[2:3], off
	;; [unrolled: 4-line block ×7, first 2 shown]
	global_store_b64 v[4:5], v[22:23], off
	global_store_b64 v[6:7], v[24:25], off
	;; [unrolled: 1-line block ×4, first 2 shown]
.LBB0_2:
	s_nop 0
	s_sendmsg sendmsg(MSG_DEALLOC_VGPRS)
	s_endpgm
	.section	.rodata,"a",@progbits
	.p2align	6, 0x0
	.amdhsa_kernel bluestein_single_fwd_len2560_dim1_sp_op_CI_CI
		.amdhsa_group_segment_fixed_size 20480
		.amdhsa_private_segment_fixed_size 0
		.amdhsa_kernarg_size 104
		.amdhsa_user_sgpr_count 2
		.amdhsa_user_sgpr_dispatch_ptr 0
		.amdhsa_user_sgpr_queue_ptr 0
		.amdhsa_user_sgpr_kernarg_segment_ptr 1
		.amdhsa_user_sgpr_dispatch_id 0
		.amdhsa_user_sgpr_private_segment_size 0
		.amdhsa_wavefront_size32 1
		.amdhsa_uses_dynamic_stack 0
		.amdhsa_enable_private_segment 0
		.amdhsa_system_sgpr_workgroup_id_x 1
		.amdhsa_system_sgpr_workgroup_id_y 0
		.amdhsa_system_sgpr_workgroup_id_z 0
		.amdhsa_system_sgpr_workgroup_info 0
		.amdhsa_system_vgpr_workitem_id 0
		.amdhsa_next_free_vgpr 216
		.amdhsa_next_free_sgpr 20
		.amdhsa_reserve_vcc 1
		.amdhsa_float_round_mode_32 0
		.amdhsa_float_round_mode_16_64 0
		.amdhsa_float_denorm_mode_32 3
		.amdhsa_float_denorm_mode_16_64 3
		.amdhsa_fp16_overflow 0
		.amdhsa_workgroup_processor_mode 1
		.amdhsa_memory_ordered 1
		.amdhsa_forward_progress 0
		.amdhsa_round_robin_scheduling 0
		.amdhsa_exception_fp_ieee_invalid_op 0
		.amdhsa_exception_fp_denorm_src 0
		.amdhsa_exception_fp_ieee_div_zero 0
		.amdhsa_exception_fp_ieee_overflow 0
		.amdhsa_exception_fp_ieee_underflow 0
		.amdhsa_exception_fp_ieee_inexact 0
		.amdhsa_exception_int_div_zero 0
	.end_amdhsa_kernel
	.text
.Lfunc_end0:
	.size	bluestein_single_fwd_len2560_dim1_sp_op_CI_CI, .Lfunc_end0-bluestein_single_fwd_len2560_dim1_sp_op_CI_CI
                                        ; -- End function
	.section	.AMDGPU.csdata,"",@progbits
; Kernel info:
; codeLenInByte = 16880
; NumSgprs: 22
; NumVgprs: 216
; ScratchSize: 0
; MemoryBound: 0
; FloatMode: 240
; IeeeMode: 1
; LDSByteSize: 20480 bytes/workgroup (compile time only)
; SGPRBlocks: 2
; VGPRBlocks: 26
; NumSGPRsForWavesPerEU: 22
; NumVGPRsForWavesPerEU: 216
; Occupancy: 6
; WaveLimiterHint : 1
; COMPUTE_PGM_RSRC2:SCRATCH_EN: 0
; COMPUTE_PGM_RSRC2:USER_SGPR: 2
; COMPUTE_PGM_RSRC2:TRAP_HANDLER: 0
; COMPUTE_PGM_RSRC2:TGID_X_EN: 1
; COMPUTE_PGM_RSRC2:TGID_Y_EN: 0
; COMPUTE_PGM_RSRC2:TGID_Z_EN: 0
; COMPUTE_PGM_RSRC2:TIDIG_COMP_CNT: 0
	.text
	.p2alignl 7, 3214868480
	.fill 96, 4, 3214868480
	.type	__hip_cuid_79efa0c19e018dca,@object ; @__hip_cuid_79efa0c19e018dca
	.section	.bss,"aw",@nobits
	.globl	__hip_cuid_79efa0c19e018dca
__hip_cuid_79efa0c19e018dca:
	.byte	0                               ; 0x0
	.size	__hip_cuid_79efa0c19e018dca, 1

	.ident	"AMD clang version 19.0.0git (https://github.com/RadeonOpenCompute/llvm-project roc-6.4.0 25133 c7fe45cf4b819c5991fe208aaa96edf142730f1d)"
	.section	".note.GNU-stack","",@progbits
	.addrsig
	.addrsig_sym __hip_cuid_79efa0c19e018dca
	.amdgpu_metadata
---
amdhsa.kernels:
  - .args:
      - .actual_access:  read_only
        .address_space:  global
        .offset:         0
        .size:           8
        .value_kind:     global_buffer
      - .actual_access:  read_only
        .address_space:  global
        .offset:         8
        .size:           8
        .value_kind:     global_buffer
      - .actual_access:  read_only
        .address_space:  global
        .offset:         16
        .size:           8
        .value_kind:     global_buffer
      - .actual_access:  read_only
        .address_space:  global
        .offset:         24
        .size:           8
        .value_kind:     global_buffer
      - .actual_access:  read_only
        .address_space:  global
        .offset:         32
        .size:           8
        .value_kind:     global_buffer
      - .offset:         40
        .size:           8
        .value_kind:     by_value
      - .address_space:  global
        .offset:         48
        .size:           8
        .value_kind:     global_buffer
      - .address_space:  global
        .offset:         56
        .size:           8
        .value_kind:     global_buffer
      - .address_space:  global
        .offset:         64
        .size:           8
        .value_kind:     global_buffer
      - .address_space:  global
        .offset:         72
        .size:           8
        .value_kind:     global_buffer
      - .offset:         80
        .size:           4
        .value_kind:     by_value
      - .address_space:  global
        .offset:         88
        .size:           8
        .value_kind:     global_buffer
      - .address_space:  global
        .offset:         96
        .size:           8
        .value_kind:     global_buffer
    .group_segment_fixed_size: 20480
    .kernarg_segment_align: 8
    .kernarg_segment_size: 104
    .language:       OpenCL C
    .language_version:
      - 2
      - 0
    .max_flat_workgroup_size: 128
    .name:           bluestein_single_fwd_len2560_dim1_sp_op_CI_CI
    .private_segment_fixed_size: 0
    .sgpr_count:     22
    .sgpr_spill_count: 0
    .symbol:         bluestein_single_fwd_len2560_dim1_sp_op_CI_CI.kd
    .uniform_work_group_size: 1
    .uses_dynamic_stack: false
    .vgpr_count:     216
    .vgpr_spill_count: 0
    .wavefront_size: 32
    .workgroup_processor_mode: 1
amdhsa.target:   amdgcn-amd-amdhsa--gfx1201
amdhsa.version:
  - 1
  - 2
...

	.end_amdgpu_metadata
